;; amdgpu-corpus repo=ROCm/rocFFT kind=compiled arch=gfx1201 opt=O3
	.text
	.amdgcn_target "amdgcn-amd-amdhsa--gfx1201"
	.amdhsa_code_object_version 6
	.protected	fft_rtc_fwd_len1680_factors_2_2_2_2_3_7_5_wgs_112_tpt_112_halfLds_sp_ip_CI_unitstride_sbrr_dirReg ; -- Begin function fft_rtc_fwd_len1680_factors_2_2_2_2_3_7_5_wgs_112_tpt_112_halfLds_sp_ip_CI_unitstride_sbrr_dirReg
	.globl	fft_rtc_fwd_len1680_factors_2_2_2_2_3_7_5_wgs_112_tpt_112_halfLds_sp_ip_CI_unitstride_sbrr_dirReg
	.p2align	8
	.type	fft_rtc_fwd_len1680_factors_2_2_2_2_3_7_5_wgs_112_tpt_112_halfLds_sp_ip_CI_unitstride_sbrr_dirReg,@function
fft_rtc_fwd_len1680_factors_2_2_2_2_3_7_5_wgs_112_tpt_112_halfLds_sp_ip_CI_unitstride_sbrr_dirReg: ; @fft_rtc_fwd_len1680_factors_2_2_2_2_3_7_5_wgs_112_tpt_112_halfLds_sp_ip_CI_unitstride_sbrr_dirReg
; %bb.0:
	s_clause 0x2
	s_load_b128 s[4:7], s[0:1], 0x0
	s_load_b64 s[8:9], s[0:1], 0x50
	s_load_b64 s[10:11], s[0:1], 0x18
	v_mul_u32_u24_e32 v1, 0x24a, v0
	v_mov_b32_e32 v3, 0
	s_delay_alu instid0(VALU_DEP_2) | instskip(NEXT) | instid1(VALU_DEP_1)
	v_lshrrev_b32_e32 v1, 16, v1
	v_add_nc_u32_e32 v5, ttmp9, v1
	v_mov_b32_e32 v1, 0
	v_mov_b32_e32 v2, 0
	;; [unrolled: 1-line block ×3, first 2 shown]
	s_wait_kmcnt 0x0
	v_cmp_lt_u64_e64 s2, s[6:7], 2
	s_delay_alu instid0(VALU_DEP_1)
	s_and_b32 vcc_lo, exec_lo, s2
	s_cbranch_vccnz .LBB0_8
; %bb.1:
	s_load_b64 s[2:3], s[0:1], 0x10
	v_mov_b32_e32 v1, 0
	v_mov_b32_e32 v2, 0
	s_add_nc_u64 s[12:13], s[10:11], 8
	s_mov_b64 s[14:15], 1
	s_wait_kmcnt 0x0
	s_add_nc_u64 s[16:17], s[2:3], 8
	s_mov_b32 s3, 0
.LBB0_2:                                ; =>This Inner Loop Header: Depth=1
	s_load_b64 s[18:19], s[16:17], 0x0
                                        ; implicit-def: $vgpr7_vgpr8
	s_mov_b32 s2, exec_lo
	s_wait_kmcnt 0x0
	v_or_b32_e32 v4, s19, v6
	s_delay_alu instid0(VALU_DEP_1)
	v_cmpx_ne_u64_e32 0, v[3:4]
	s_wait_alu 0xfffe
	s_xor_b32 s20, exec_lo, s2
	s_cbranch_execz .LBB0_4
; %bb.3:                                ;   in Loop: Header=BB0_2 Depth=1
	s_cvt_f32_u32 s2, s18
	s_cvt_f32_u32 s21, s19
	s_sub_nc_u64 s[24:25], 0, s[18:19]
	s_wait_alu 0xfffe
	s_delay_alu instid0(SALU_CYCLE_1) | instskip(SKIP_1) | instid1(SALU_CYCLE_2)
	s_fmamk_f32 s2, s21, 0x4f800000, s2
	s_wait_alu 0xfffe
	v_s_rcp_f32 s2, s2
	s_delay_alu instid0(TRANS32_DEP_1) | instskip(SKIP_1) | instid1(SALU_CYCLE_2)
	s_mul_f32 s2, s2, 0x5f7ffffc
	s_wait_alu 0xfffe
	s_mul_f32 s21, s2, 0x2f800000
	s_wait_alu 0xfffe
	s_delay_alu instid0(SALU_CYCLE_2) | instskip(SKIP_1) | instid1(SALU_CYCLE_2)
	s_trunc_f32 s21, s21
	s_wait_alu 0xfffe
	s_fmamk_f32 s2, s21, 0xcf800000, s2
	s_cvt_u32_f32 s23, s21
	s_wait_alu 0xfffe
	s_delay_alu instid0(SALU_CYCLE_1) | instskip(SKIP_1) | instid1(SALU_CYCLE_2)
	s_cvt_u32_f32 s22, s2
	s_wait_alu 0xfffe
	s_mul_u64 s[26:27], s[24:25], s[22:23]
	s_wait_alu 0xfffe
	s_mul_hi_u32 s29, s22, s27
	s_mul_i32 s28, s22, s27
	s_mul_hi_u32 s2, s22, s26
	s_mul_i32 s30, s23, s26
	s_wait_alu 0xfffe
	s_add_nc_u64 s[28:29], s[2:3], s[28:29]
	s_mul_hi_u32 s21, s23, s26
	s_mul_hi_u32 s31, s23, s27
	s_add_co_u32 s2, s28, s30
	s_wait_alu 0xfffe
	s_add_co_ci_u32 s2, s29, s21
	s_mul_i32 s26, s23, s27
	s_add_co_ci_u32 s27, s31, 0
	s_wait_alu 0xfffe
	s_add_nc_u64 s[26:27], s[2:3], s[26:27]
	s_wait_alu 0xfffe
	v_add_co_u32 v4, s2, s22, s26
	s_delay_alu instid0(VALU_DEP_1) | instskip(SKIP_1) | instid1(VALU_DEP_1)
	s_cmp_lg_u32 s2, 0
	s_add_co_ci_u32 s23, s23, s27
	v_readfirstlane_b32 s22, v4
	s_wait_alu 0xfffe
	s_delay_alu instid0(VALU_DEP_1)
	s_mul_u64 s[24:25], s[24:25], s[22:23]
	s_wait_alu 0xfffe
	s_mul_hi_u32 s27, s22, s25
	s_mul_i32 s26, s22, s25
	s_mul_hi_u32 s2, s22, s24
	s_mul_i32 s28, s23, s24
	s_wait_alu 0xfffe
	s_add_nc_u64 s[26:27], s[2:3], s[26:27]
	s_mul_hi_u32 s21, s23, s24
	s_mul_hi_u32 s22, s23, s25
	s_wait_alu 0xfffe
	s_add_co_u32 s2, s26, s28
	s_add_co_ci_u32 s2, s27, s21
	s_mul_i32 s24, s23, s25
	s_add_co_ci_u32 s25, s22, 0
	s_wait_alu 0xfffe
	s_add_nc_u64 s[24:25], s[2:3], s[24:25]
	s_wait_alu 0xfffe
	v_add_co_u32 v4, s2, v4, s24
	s_delay_alu instid0(VALU_DEP_1) | instskip(SKIP_1) | instid1(VALU_DEP_1)
	s_cmp_lg_u32 s2, 0
	s_add_co_ci_u32 s2, s23, s25
	v_mul_hi_u32 v13, v5, v4
	s_wait_alu 0xfffe
	v_mad_co_u64_u32 v[7:8], null, v5, s2, 0
	v_mad_co_u64_u32 v[9:10], null, v6, v4, 0
	;; [unrolled: 1-line block ×3, first 2 shown]
	s_delay_alu instid0(VALU_DEP_3) | instskip(SKIP_1) | instid1(VALU_DEP_4)
	v_add_co_u32 v4, vcc_lo, v13, v7
	s_wait_alu 0xfffd
	v_add_co_ci_u32_e32 v7, vcc_lo, 0, v8, vcc_lo
	s_delay_alu instid0(VALU_DEP_2) | instskip(SKIP_1) | instid1(VALU_DEP_2)
	v_add_co_u32 v4, vcc_lo, v4, v9
	s_wait_alu 0xfffd
	v_add_co_ci_u32_e32 v4, vcc_lo, v7, v10, vcc_lo
	s_wait_alu 0xfffd
	v_add_co_ci_u32_e32 v7, vcc_lo, 0, v12, vcc_lo
	s_delay_alu instid0(VALU_DEP_2) | instskip(SKIP_1) | instid1(VALU_DEP_2)
	v_add_co_u32 v4, vcc_lo, v4, v11
	s_wait_alu 0xfffd
	v_add_co_ci_u32_e32 v9, vcc_lo, 0, v7, vcc_lo
	s_delay_alu instid0(VALU_DEP_2) | instskip(SKIP_1) | instid1(VALU_DEP_3)
	v_mul_lo_u32 v10, s19, v4
	v_mad_co_u64_u32 v[7:8], null, s18, v4, 0
	v_mul_lo_u32 v11, s18, v9
	s_delay_alu instid0(VALU_DEP_2) | instskip(NEXT) | instid1(VALU_DEP_2)
	v_sub_co_u32 v7, vcc_lo, v5, v7
	v_add3_u32 v8, v8, v11, v10
	s_delay_alu instid0(VALU_DEP_1) | instskip(SKIP_1) | instid1(VALU_DEP_1)
	v_sub_nc_u32_e32 v10, v6, v8
	s_wait_alu 0xfffd
	v_subrev_co_ci_u32_e64 v10, s2, s19, v10, vcc_lo
	v_add_co_u32 v11, s2, v4, 2
	s_wait_alu 0xf1ff
	v_add_co_ci_u32_e64 v12, s2, 0, v9, s2
	v_sub_co_u32 v13, s2, v7, s18
	v_sub_co_ci_u32_e32 v8, vcc_lo, v6, v8, vcc_lo
	s_wait_alu 0xf1ff
	v_subrev_co_ci_u32_e64 v10, s2, 0, v10, s2
	s_delay_alu instid0(VALU_DEP_3) | instskip(NEXT) | instid1(VALU_DEP_3)
	v_cmp_le_u32_e32 vcc_lo, s18, v13
	v_cmp_eq_u32_e64 s2, s19, v8
	s_wait_alu 0xfffd
	v_cndmask_b32_e64 v13, 0, -1, vcc_lo
	v_cmp_le_u32_e32 vcc_lo, s19, v10
	s_wait_alu 0xfffd
	v_cndmask_b32_e64 v14, 0, -1, vcc_lo
	v_cmp_le_u32_e32 vcc_lo, s18, v7
	;; [unrolled: 3-line block ×3, first 2 shown]
	s_wait_alu 0xfffd
	v_cndmask_b32_e64 v15, 0, -1, vcc_lo
	v_cmp_eq_u32_e32 vcc_lo, s19, v10
	s_wait_alu 0xf1ff
	s_delay_alu instid0(VALU_DEP_2)
	v_cndmask_b32_e64 v7, v15, v7, s2
	s_wait_alu 0xfffd
	v_cndmask_b32_e32 v10, v14, v13, vcc_lo
	v_add_co_u32 v13, vcc_lo, v4, 1
	s_wait_alu 0xfffd
	v_add_co_ci_u32_e32 v14, vcc_lo, 0, v9, vcc_lo
	s_delay_alu instid0(VALU_DEP_3) | instskip(SKIP_2) | instid1(VALU_DEP_3)
	v_cmp_ne_u32_e32 vcc_lo, 0, v10
	s_wait_alu 0xfffd
	v_cndmask_b32_e32 v10, v13, v11, vcc_lo
	v_cndmask_b32_e32 v8, v14, v12, vcc_lo
	v_cmp_ne_u32_e32 vcc_lo, 0, v7
	s_wait_alu 0xfffd
	s_delay_alu instid0(VALU_DEP_2)
	v_dual_cndmask_b32 v7, v4, v10 :: v_dual_cndmask_b32 v8, v9, v8
.LBB0_4:                                ;   in Loop: Header=BB0_2 Depth=1
	s_wait_alu 0xfffe
	s_and_not1_saveexec_b32 s2, s20
	s_cbranch_execz .LBB0_6
; %bb.5:                                ;   in Loop: Header=BB0_2 Depth=1
	v_cvt_f32_u32_e32 v4, s18
	s_sub_co_i32 s20, 0, s18
	s_delay_alu instid0(VALU_DEP_1) | instskip(NEXT) | instid1(TRANS32_DEP_1)
	v_rcp_iflag_f32_e32 v4, v4
	v_mul_f32_e32 v4, 0x4f7ffffe, v4
	s_delay_alu instid0(VALU_DEP_1) | instskip(SKIP_1) | instid1(VALU_DEP_1)
	v_cvt_u32_f32_e32 v4, v4
	s_wait_alu 0xfffe
	v_mul_lo_u32 v7, s20, v4
	s_delay_alu instid0(VALU_DEP_1) | instskip(NEXT) | instid1(VALU_DEP_1)
	v_mul_hi_u32 v7, v4, v7
	v_add_nc_u32_e32 v4, v4, v7
	s_delay_alu instid0(VALU_DEP_1) | instskip(NEXT) | instid1(VALU_DEP_1)
	v_mul_hi_u32 v4, v5, v4
	v_mul_lo_u32 v7, v4, s18
	v_add_nc_u32_e32 v8, 1, v4
	s_delay_alu instid0(VALU_DEP_2) | instskip(NEXT) | instid1(VALU_DEP_1)
	v_sub_nc_u32_e32 v7, v5, v7
	v_subrev_nc_u32_e32 v9, s18, v7
	v_cmp_le_u32_e32 vcc_lo, s18, v7
	s_wait_alu 0xfffd
	s_delay_alu instid0(VALU_DEP_2) | instskip(NEXT) | instid1(VALU_DEP_1)
	v_dual_cndmask_b32 v7, v7, v9 :: v_dual_cndmask_b32 v4, v4, v8
	v_cmp_le_u32_e32 vcc_lo, s18, v7
	s_delay_alu instid0(VALU_DEP_2) | instskip(SKIP_1) | instid1(VALU_DEP_1)
	v_add_nc_u32_e32 v8, 1, v4
	s_wait_alu 0xfffd
	v_dual_cndmask_b32 v7, v4, v8 :: v_dual_mov_b32 v8, v3
.LBB0_6:                                ;   in Loop: Header=BB0_2 Depth=1
	s_wait_alu 0xfffe
	s_or_b32 exec_lo, exec_lo, s2
	s_load_b64 s[20:21], s[12:13], 0x0
	s_delay_alu instid0(VALU_DEP_1)
	v_mul_lo_u32 v4, v8, s18
	v_mul_lo_u32 v11, v7, s19
	v_mad_co_u64_u32 v[9:10], null, v7, s18, 0
	s_add_nc_u64 s[14:15], s[14:15], 1
	s_add_nc_u64 s[12:13], s[12:13], 8
	s_wait_alu 0xfffe
	v_cmp_ge_u64_e64 s2, s[14:15], s[6:7]
	s_add_nc_u64 s[16:17], s[16:17], 8
	s_delay_alu instid0(VALU_DEP_2) | instskip(NEXT) | instid1(VALU_DEP_3)
	v_add3_u32 v4, v10, v11, v4
	v_sub_co_u32 v5, vcc_lo, v5, v9
	s_wait_alu 0xfffd
	s_delay_alu instid0(VALU_DEP_2) | instskip(SKIP_3) | instid1(VALU_DEP_2)
	v_sub_co_ci_u32_e32 v4, vcc_lo, v6, v4, vcc_lo
	s_and_b32 vcc_lo, exec_lo, s2
	s_wait_kmcnt 0x0
	v_mul_lo_u32 v6, s21, v5
	v_mul_lo_u32 v4, s20, v4
	v_mad_co_u64_u32 v[1:2], null, s20, v5, v[1:2]
	s_delay_alu instid0(VALU_DEP_1)
	v_add3_u32 v2, v6, v2, v4
	s_wait_alu 0xfffe
	s_cbranch_vccnz .LBB0_9
; %bb.7:                                ;   in Loop: Header=BB0_2 Depth=1
	v_dual_mov_b32 v5, v7 :: v_dual_mov_b32 v6, v8
	s_branch .LBB0_2
.LBB0_8:
	v_dual_mov_b32 v8, v6 :: v_dual_mov_b32 v7, v5
.LBB0_9:
	s_lshl_b64 s[2:3], s[6:7], 3
	v_mul_hi_u32 v5, 0x2492493, v0
	s_wait_alu 0xfffe
	s_add_nc_u64 s[2:3], s[10:11], s[2:3]
                                        ; implicit-def: $vgpr30
                                        ; implicit-def: $vgpr18
                                        ; implicit-def: $vgpr20
                                        ; implicit-def: $vgpr10
                                        ; implicit-def: $vgpr26
                                        ; implicit-def: $vgpr22
                                        ; implicit-def: $vgpr28
                                        ; implicit-def: $vgpr24
                                        ; implicit-def: $vgpr34
                                        ; implicit-def: $vgpr32
                                        ; implicit-def: $vgpr36
                                        ; implicit-def: $vgpr42
                                        ; implicit-def: $vgpr38
                                        ; implicit-def: $vgpr40
                                        ; implicit-def: $vgpr44
	s_load_b64 s[2:3], s[2:3], 0x0
	s_load_b64 s[0:1], s[0:1], 0x20
	s_wait_kmcnt 0x0
	v_mul_lo_u32 v3, s2, v8
	v_mul_lo_u32 v4, s3, v7
	v_mad_co_u64_u32 v[1:2], null, s2, v7, v[1:2]
	v_cmp_gt_u64_e32 vcc_lo, s[0:1], v[7:8]
                                        ; implicit-def: $vgpr8
	s_delay_alu instid0(VALU_DEP_2) | instskip(SKIP_1) | instid1(VALU_DEP_2)
	v_add3_u32 v2, v4, v2, v3
	v_mul_u32_u24_e32 v3, 0x70, v5
	v_lshlrev_b64_e32 v[1:2], 3, v[1:2]
	s_delay_alu instid0(VALU_DEP_2)
	v_sub_nc_u32_e32 v3, v0, v3
	s_and_saveexec_b32 s1, vcc_lo
	s_cbranch_execz .LBB0_13
; %bb.10:
	v_mov_b32_e32 v4, 0
	s_delay_alu instid0(VALU_DEP_3) | instskip(SKIP_2) | instid1(VALU_DEP_3)
	v_add_co_u32 v0, s0, s8, v1
	s_wait_alu 0xf1ff
	v_add_co_ci_u32_e64 v6, s0, s9, v2, s0
	v_lshlrev_b64_e32 v[4:5], 3, v[3:4]
	s_mov_b32 s2, exec_lo
                                        ; implicit-def: $vgpr41
                                        ; implicit-def: $vgpr35
	s_delay_alu instid0(VALU_DEP_1) | instskip(SKIP_1) | instid1(VALU_DEP_2)
	v_add_co_u32 v4, s0, v0, v4
	s_wait_alu 0xf1ff
	v_add_co_ci_u32_e64 v5, s0, v6, v5, s0
	s_clause 0xd
	global_load_b64 v[7:8], v[4:5], off
	global_load_b64 v[17:18], v[4:5], off offset:896
	global_load_b64 v[19:20], v[4:5], off offset:1792
	;; [unrolled: 1-line block ×13, first 2 shown]
	v_cmpx_gt_u32_e32 56, v3
; %bb.11:
	s_clause 0x1
	global_load_b64 v[35:36], v[4:5], off offset:6272
	global_load_b64 v[41:42], v[4:5], off offset:12992
; %bb.12:
	s_wait_alu 0xfffe
	s_or_b32 exec_lo, exec_lo, s2
.LBB0_13:
	s_wait_alu 0xfffe
	s_or_b32 exec_lo, exec_lo, s1
	s_wait_loadcnt 0x3
	v_dual_sub_f32 v13, v7, v29 :: v_dual_add_nc_u32 v54, 0xe0, v3
	s_wait_loadcnt 0x0
	v_dual_sub_f32 v15, v17, v43 :: v_dual_sub_f32 v50, v31, v37
	v_sub_f32_e32 v46, v19, v39
	s_delay_alu instid0(VALU_DEP_3)
	v_fma_f32 v12, v7, 2.0, -v13
	v_sub_f32_e32 v7, v21, v27
	v_dual_sub_f32 v48, v9, v25 :: v_dual_add_nc_u32 v53, 0x70, v3
	v_fma_f32 v14, v17, 2.0, -v15
	v_fma_f32 v45, v19, 2.0, -v46
	v_dual_sub_f32 v17, v23, v33 :: v_dual_add_nc_u32 v56, 0x1c0, v3
	v_fma_f32 v6, v21, 2.0, -v7
	v_sub_f32_e32 v5, v35, v41
	v_add_nc_u32_e32 v55, 0x150, v3
	v_add_nc_u32_e32 v19, 0x230, v3
	;; [unrolled: 1-line block ×4, first 2 shown]
	v_fma_f32 v16, v23, 2.0, -v17
	v_fma_f32 v49, v31, 2.0, -v50
	;; [unrolled: 1-line block ×3, first 2 shown]
	v_lshl_add_u32 v25, v3, 3, 0
	v_lshl_add_u32 v23, v53, 3, 0
	;; [unrolled: 1-line block ×7, first 2 shown]
	v_cmp_gt_u32_e64 s0, 56, v3
	v_lshl_add_u32 v29, v11, 3, 0
	v_fma_f32 v47, v9, 2.0, -v48
	ds_store_b64 v25, v[12:13]
	ds_store_b64 v23, v[14:15]
	;; [unrolled: 1-line block ×7, first 2 shown]
	s_and_saveexec_b32 s1, s0
	s_cbranch_execz .LBB0_15
; %bb.14:
	ds_store_b64 v29, v[4:5]
.LBB0_15:
	s_wait_alu 0xfffe
	s_or_b32 exec_lo, exec_lo, s1
	v_lshl_add_u32 v0, v3, 2, 0
	global_wb scope:SCOPE_SE
	s_wait_dscnt 0x0
	s_barrier_signal -1
	s_barrier_wait -1
	global_inv scope:SCOPE_SE
	v_add_nc_u32_e32 v6, 0xa00, v0
	v_add_nc_u32_e32 v7, 0xe00, v0
	;; [unrolled: 1-line block ×5, first 2 shown]
	ds_load_2addr_b32 v[16:17], v6 offset0:32 offset1:200
	v_add_nc_u32_e32 v6, 0x600, v0
	ds_load_2addr_b32 v[45:46], v0 offset1:112
	ds_load_2addr_b32 v[14:15], v7 offset0:56 offset1:168
	ds_load_2addr_b32 v[47:48], v9 offset0:96 offset1:208
	;; [unrolled: 1-line block ×5, first 2 shown]
	s_and_saveexec_b32 s1, s0
	s_cbranch_execz .LBB0_17
; %bb.16:
	ds_load_b32 v4, v0 offset:3136
	ds_load_b32 v5, v0 offset:6496
.LBB0_17:
	s_wait_alu 0xfffe
	s_or_b32 exec_lo, exec_lo, s1
	v_dual_sub_f32 v41, v8, v30 :: v_dual_sub_f32 v44, v18, v44
	v_dual_sub_f32 v58, v22, v28 :: v_dual_sub_f32 v9, v36, v42
	;; [unrolled: 1-line block ×3, first 2 shown]
	s_delay_alu instid0(VALU_DEP_3)
	v_fma_f32 v40, v8, 2.0, -v41
	v_sub_f32_e32 v60, v24, v34
	v_sub_f32_e32 v62, v32, v38
	v_fma_f32 v8, v36, 2.0, -v9
	v_fma_f32 v43, v18, 2.0, -v44
	;; [unrolled: 1-line block ×7, first 2 shown]
	global_wb scope:SCOPE_SE
	s_wait_dscnt 0x0
	s_barrier_signal -1
	s_barrier_wait -1
	global_inv scope:SCOPE_SE
	ds_store_b64 v25, v[40:41]
	ds_store_b64 v23, v[43:44]
	;; [unrolled: 1-line block ×7, first 2 shown]
	s_and_saveexec_b32 s1, s0
	s_cbranch_execz .LBB0_19
; %bb.18:
	ds_store_b64 v29, v[8:9]
.LBB0_19:
	s_wait_alu 0xfffe
	s_or_b32 exec_lo, exec_lo, s1
	v_add_nc_u32_e32 v10, 0xa00, v0
	global_wb scope:SCOPE_SE
	s_wait_dscnt 0x0
	s_barrier_signal -1
	s_barrier_wait -1
	global_inv scope:SCOPE_SE
	ds_load_2addr_b32 v[26:27], v0 offset1:112
	ds_load_2addr_b32 v[24:25], v10 offset0:32 offset1:200
	v_add_nc_u32_e32 v10, 0xe00, v0
	v_add_nc_u32_e32 v18, 0x200, v0
	;; [unrolled: 1-line block ×5, first 2 shown]
	ds_load_2addr_b32 v[40:41], v10 offset0:56 offset1:168
	ds_load_2addr_b32 v[28:29], v18 offset0:96 offset1:208
	;; [unrolled: 1-line block ×5, first 2 shown]
	v_lshlrev_b32_e32 v64, 1, v3
	v_lshlrev_b32_e32 v63, 1, v53
	;; [unrolled: 1-line block ×7, first 2 shown]
	s_and_saveexec_b32 s1, s0
	s_cbranch_execz .LBB0_21
; %bb.20:
	ds_load_b32 v8, v0 offset:3136
	ds_load_b32 v9, v0 offset:6496
.LBB0_21:
	s_wait_alu 0xfffe
	s_or_b32 exec_lo, exec_lo, s1
	v_and_b32_e32 v44, 1, v3
	s_delay_alu instid0(VALU_DEP_1)
	v_lshlrev_b32_e32 v10, 3, v44
	global_load_b64 v[51:52], v10, s[4:5]
	v_lshlrev_b32_e32 v57, 1, v11
	v_and_or_b32 v11, 0x1fc, v63, v44
	global_wb scope:SCOPE_SE
	s_wait_loadcnt_dscnt 0x0
	s_barrier_signal -1
	s_barrier_wait -1
	global_inv scope:SCOPE_SE
	v_lshl_add_u32 v67, v11, 2, 0
	v_mul_f32_e32 v11, v40, v52
	v_and_or_b32 v10, 0xfc, v64, v44
	v_and_or_b32 v19, 0x3fc, v61, v44
	;; [unrolled: 1-line block ×5, first 2 shown]
	v_lshl_add_u32 v66, v10, 2, 0
	v_mul_f32_e32 v10, v25, v52
	v_lshl_add_u32 v69, v19, 2, 0
	v_lshl_add_u32 v68, v18, 2, 0
	;; [unrolled: 1-line block ×3, first 2 shown]
	v_and_or_b32 v22, 0x7fc, v58, v44
	v_fma_f32 v10, v17, v51, -v10
	v_mul_f32_e32 v19, v42, v52
	v_mul_f32_e32 v23, v9, v52
	v_lshl_add_u32 v70, v20, 2, 0
	v_lshl_add_u32 v72, v22, 2, 0
	v_sub_f32_e32 v10, v45, v10
	v_fma_f32 v19, v12, v51, -v19
	v_mul_f32_e32 v18, v41, v52
	v_fma_f32 v23, v5, v51, -v23
	v_mul_f32_e32 v22, v39, v52
	v_fma_f32 v11, v14, v51, -v11
	v_sub_f32_e32 v19, v48, v19
	v_fma_f32 v18, v15, v51, -v18
	v_sub_f32_e32 v65, v4, v23
	v_mul_f32_e32 v21, v38, v52
	v_fma_f32 v22, v7, v51, -v22
	s_delay_alu instid0(VALU_DEP_4) | instskip(SKIP_1) | instid1(VALU_DEP_4)
	v_dual_sub_f32 v11, v46, v11 :: v_dual_sub_f32 v18, v47, v18
	v_fma_f32 v23, v45, 2.0, -v10
	v_fma_f32 v21, v6, v51, -v21
	v_mul_f32_e32 v20, v43, v52
	v_sub_f32_e32 v22, v16, v22
	v_fma_f32 v4, v4, 2.0, -v65
	v_fma_f32 v32, v46, 2.0, -v11
	v_sub_f32_e32 v21, v50, v21
	v_fma_f32 v20, v13, v51, -v20
	v_fma_f32 v33, v47, 2.0, -v18
	v_fma_f32 v34, v48, 2.0, -v19
	;; [unrolled: 1-line block ×4, first 2 shown]
	v_sub_f32_e32 v20, v49, v20
	s_delay_alu instid0(VALU_DEP_1)
	v_fma_f32 v35, v49, 2.0, -v20
	ds_store_2addr_b32 v66, v23, v10 offset1:2
	ds_store_2addr_b32 v67, v32, v11 offset1:2
	;; [unrolled: 1-line block ×7, first 2 shown]
	s_and_saveexec_b32 s1, s0
	s_cbranch_execz .LBB0_23
; %bb.22:
	v_and_or_b32 v10, 0x6fc, v57, v44
	s_delay_alu instid0(VALU_DEP_1)
	v_lshl_add_u32 v10, v10, 2, 0
	ds_store_2addr_b32 v10, v4, v65 offset1:2
.LBB0_23:
	s_wait_alu 0xfffe
	s_or_b32 exec_lo, exec_lo, s1
	v_add_nc_u32_e32 v10, 0xa00, v0
	global_wb scope:SCOPE_SE
	s_wait_dscnt 0x0
	s_barrier_signal -1
	s_barrier_wait -1
	global_inv scope:SCOPE_SE
	ds_load_2addr_b32 v[32:33], v0 offset1:112
	ds_load_2addr_b32 v[18:19], v10 offset0:32 offset1:200
	v_add_nc_u32_e32 v10, 0xe00, v0
	v_add_nc_u32_e32 v11, 0x200, v0
	;; [unrolled: 1-line block ×5, first 2 shown]
	ds_load_2addr_b32 v[22:23], v10 offset0:56 offset1:168
	ds_load_2addr_b32 v[34:35], v11 offset0:96 offset1:208
	;; [unrolled: 1-line block ×5, first 2 shown]
	s_and_saveexec_b32 s1, s0
	s_cbranch_execz .LBB0_25
; %bb.24:
	ds_load_b32 v4, v0 offset:3136
	ds_load_b32 v65, v0 offset:6496
.LBB0_25:
	s_wait_alu 0xfffe
	s_or_b32 exec_lo, exec_lo, s1
	v_mul_f32_e32 v13, v13, v52
	v_mul_f32_e32 v16, v17, v52
	global_wb scope:SCOPE_SE
	s_wait_dscnt 0x0
	s_barrier_signal -1
	s_barrier_wait -1
	v_fmac_f32_e32 v13, v43, v51
	v_dual_mul_f32 v15, v15, v52 :: v_dual_fmac_f32 v16, v25, v51
	v_mul_f32_e32 v14, v14, v52
	global_inv scope:SCOPE_SE
	v_mul_f32_e32 v7, v7, v52
	v_dual_fmac_f32 v15, v41, v51 :: v_dual_mul_f32 v6, v6, v52
	v_mul_f32_e32 v12, v12, v52
	v_fmac_f32_e32 v14, v40, v51
	s_delay_alu instid0(VALU_DEP_4) | instskip(NEXT) | instid1(VALU_DEP_4)
	v_fmac_f32_e32 v7, v39, v51
	v_sub_f32_e32 v15, v28, v15
	v_fmac_f32_e32 v6, v38, v51
	v_dual_fmac_f32 v12, v42, v51 :: v_dual_mul_f32 v5, v5, v52
	v_sub_f32_e32 v16, v26, v16
	v_dual_sub_f32 v14, v27, v14 :: v_dual_sub_f32 v13, v30, v13
	s_delay_alu instid0(VALU_DEP_4)
	v_sub_f32_e32 v6, v31, v6
	v_fma_f32 v25, v28, 2.0, -v15
	v_fmac_f32_e32 v5, v9, v51
	v_dual_sub_f32 v12, v29, v12 :: v_dual_sub_f32 v7, v24, v7
	v_fma_f32 v9, v26, 2.0, -v16
	v_fma_f32 v17, v27, 2.0, -v14
	s_delay_alu instid0(VALU_DEP_4) | instskip(NEXT) | instid1(VALU_DEP_4)
	v_sub_f32_e32 v50, v8, v5
	v_fma_f32 v5, v29, 2.0, -v12
	v_fma_f32 v26, v30, 2.0, -v13
	;; [unrolled: 1-line block ×5, first 2 shown]
	ds_store_2addr_b32 v66, v9, v16 offset1:2
	ds_store_2addr_b32 v67, v17, v14 offset1:2
	;; [unrolled: 1-line block ×7, first 2 shown]
	s_and_saveexec_b32 s1, s0
	s_cbranch_execz .LBB0_27
; %bb.26:
	v_and_or_b32 v5, 0x6fc, v57, v44
	s_delay_alu instid0(VALU_DEP_1)
	v_lshl_add_u32 v5, v5, 2, 0
	ds_store_2addr_b32 v5, v49, v50 offset1:2
.LBB0_27:
	s_wait_alu 0xfffe
	s_or_b32 exec_lo, exec_lo, s1
	v_add_nc_u32_e32 v5, 0xa00, v0
	global_wb scope:SCOPE_SE
	s_wait_dscnt 0x0
	s_barrier_signal -1
	s_barrier_wait -1
	global_inv scope:SCOPE_SE
	ds_load_2addr_b32 v[28:29], v0 offset1:112
	ds_load_2addr_b32 v[14:15], v5 offset0:32 offset1:200
	v_add_nc_u32_e32 v5, 0xe00, v0
	v_add_nc_u32_e32 v6, 0x200, v0
	;; [unrolled: 1-line block ×5, first 2 shown]
	ds_load_2addr_b32 v[42:43], v5 offset0:56 offset1:168
	ds_load_2addr_b32 v[30:31], v6 offset0:96 offset1:208
	ds_load_2addr_b32 v[44:45], v7 offset0:24 offset1:136
	ds_load_2addr_b32 v[38:39], v8 offset0:64 offset1:176
	ds_load_2addr_b32 v[40:41], v9 offset0:120 offset1:232
	s_and_saveexec_b32 s1, s0
	s_cbranch_execz .LBB0_29
; %bb.28:
	ds_load_b32 v49, v0 offset:3136
	ds_load_b32 v50, v0 offset:6496
.LBB0_29:
	s_wait_alu 0xfffe
	s_or_b32 exec_lo, exec_lo, s1
	v_and_b32_e32 v51, 3, v3
	s_delay_alu instid0(VALU_DEP_1)
	v_lshlrev_b32_e32 v5, 3, v51
	v_and_or_b32 v6, 0x1f8, v63, v51
	global_load_b64 v[46:47], v5, s[4:5] offset:16
	v_lshl_add_u32 v66, v6, 2, 0
	global_wb scope:SCOPE_SE
	s_wait_loadcnt_dscnt 0x0
	s_barrier_signal -1
	s_barrier_wait -1
	global_inv scope:SCOPE_SE
	v_mul_f32_e32 v6, v42, v47
	s_delay_alu instid0(VALU_DEP_1) | instskip(NEXT) | instid1(VALU_DEP_1)
	v_fma_f32 v6, v22, v46, -v6
	v_sub_f32_e32 v6, v33, v6
	v_and_or_b32 v9, 0x7f8, v60, v51
	v_and_or_b32 v12, 0x5f8, v59, v51
	;; [unrolled: 1-line block ×5, first 2 shown]
	v_lshl_add_u32 v69, v9, 2, 0
	v_mul_f32_e32 v9, v45, v47
	v_lshl_add_u32 v70, v12, 2, 0
	v_mul_f32_e32 v12, v40, v47
	v_and_or_b32 v8, 0x3f8, v61, v51
	v_lshl_add_u32 v71, v13, 2, 0
	v_fma_f32 v9, v21, v46, -v9
	v_mul_f32_e32 v16, v50, v47
	v_mul_f32_e32 v13, v41, v47
	v_lshl_add_u32 v52, v5, 2, 0
	v_lshl_add_u32 v67, v7, 2, 0
	v_sub_f32_e32 v9, v36, v9
	v_fma_f32 v12, v10, v46, -v12
	v_mul_f32_e32 v5, v15, v47
	v_fma_f32 v16, v65, v46, -v16
	v_mul_f32_e32 v7, v43, v47
	v_lshl_add_u32 v68, v8, 2, 0
	v_fma_f32 v13, v11, v46, -v13
	v_mul_f32_e32 v8, v44, v47
	v_sub_f32_e32 v12, v37, v12
	v_fma_f32 v5, v19, v46, -v5
	s_delay_alu instid0(VALU_DEP_4) | instskip(SKIP_2) | instid1(VALU_DEP_4)
	v_dual_sub_f32 v48, v4, v16 :: v_dual_sub_f32 v13, v18, v13
	v_fma_f32 v7, v23, v46, -v7
	v_fma_f32 v8, v20, v46, -v8
	v_sub_f32_e32 v5, v32, v5
	v_fma_f32 v17, v33, 2.0, -v6
	v_fma_f32 v26, v36, 2.0, -v9
	s_delay_alu instid0(VALU_DEP_4) | instskip(NEXT) | instid1(VALU_DEP_4)
	v_dual_sub_f32 v7, v34, v7 :: v_dual_sub_f32 v8, v35, v8
	v_fma_f32 v16, v32, 2.0, -v5
	v_fma_f32 v27, v37, 2.0, -v12
	;; [unrolled: 1-line block ×3, first 2 shown]
	s_delay_alu instid0(VALU_DEP_4)
	v_fma_f32 v24, v34, 2.0, -v7
	v_fma_f32 v34, v4, 2.0, -v48
	;; [unrolled: 1-line block ×3, first 2 shown]
	ds_store_2addr_b32 v52, v16, v5 offset1:4
	ds_store_2addr_b32 v66, v17, v6 offset1:4
	;; [unrolled: 1-line block ×7, first 2 shown]
	s_and_saveexec_b32 s1, s0
	s_cbranch_execz .LBB0_31
; %bb.30:
	v_and_or_b32 v4, 0x6f8, v57, v51
	s_delay_alu instid0(VALU_DEP_1)
	v_lshl_add_u32 v4, v4, 2, 0
	ds_store_2addr_b32 v4, v34, v48 offset1:4
.LBB0_31:
	s_wait_alu 0xfffe
	s_or_b32 exec_lo, exec_lo, s1
	v_add_nc_u32_e32 v4, 0xa00, v0
	global_wb scope:SCOPE_SE
	s_wait_dscnt 0x0
	s_barrier_signal -1
	s_barrier_wait -1
	global_inv scope:SCOPE_SE
	ds_load_2addr_b32 v[16:17], v0 offset1:112
	ds_load_2addr_b32 v[6:7], v4 offset0:32 offset1:200
	v_add_nc_u32_e32 v4, 0xe00, v0
	v_add_nc_u32_e32 v5, 0x200, v0
	;; [unrolled: 1-line block ×5, first 2 shown]
	ds_load_2addr_b32 v[12:13], v4 offset0:56 offset1:168
	ds_load_2addr_b32 v[24:25], v5 offset0:96 offset1:208
	ds_load_2addr_b32 v[8:9], v8 offset0:24 offset1:136
	ds_load_2addr_b32 v[26:27], v18 offset0:64 offset1:176
	ds_load_2addr_b32 v[4:5], v32 offset0:120 offset1:232
	s_and_saveexec_b32 s1, s0
	s_cbranch_execz .LBB0_33
; %bb.32:
	ds_load_b32 v34, v0 offset:3136
	ds_load_b32 v48, v0 offset:6496
.LBB0_33:
	s_wait_alu 0xfffe
	s_or_b32 exec_lo, exec_lo, s1
	v_mul_f32_e32 v10, v10, v47
	v_mul_f32_e32 v18, v19, v47
	;; [unrolled: 1-line block ×5, first 2 shown]
	v_dual_fmac_f32 v10, v40, v46 :: v_dual_mul_f32 v11, v11, v47
	s_delay_alu instid0(VALU_DEP_4) | instskip(SKIP_1) | instid1(VALU_DEP_3)
	v_dual_mul_f32 v20, v20, v47 :: v_dual_fmac_f32 v19, v42, v46
	v_dual_fmac_f32 v18, v15, v46 :: v_dual_mul_f32 v15, v65, v47
	v_fmac_f32_e32 v11, v41, v46
	s_delay_alu instid0(VALU_DEP_3)
	v_fmac_f32_e32 v20, v44, v46
	v_fmac_f32_e32 v21, v45, v46
	;; [unrolled: 1-line block ×4, first 2 shown]
	v_dual_sub_f32 v18, v28, v18 :: v_dual_sub_f32 v19, v29, v19
	v_sub_f32_e32 v20, v31, v20
	s_delay_alu instid0(VALU_DEP_4) | instskip(NEXT) | instid1(VALU_DEP_4)
	v_sub_f32_e32 v22, v30, v22
	v_dual_sub_f32 v36, v49, v15 :: v_dual_sub_f32 v21, v38, v21
	v_sub_f32_e32 v10, v39, v10
	v_fma_f32 v23, v28, 2.0, -v18
	v_sub_f32_e32 v11, v14, v11
	s_delay_alu instid0(VALU_DEP_4)
	v_fma_f32 v35, v49, 2.0, -v36
	v_fma_f32 v28, v29, 2.0, -v19
	;; [unrolled: 1-line block ×7, first 2 shown]
	global_wb scope:SCOPE_SE
	s_wait_dscnt 0x0
	s_barrier_signal -1
	s_barrier_wait -1
	global_inv scope:SCOPE_SE
	ds_store_2addr_b32 v52, v23, v18 offset1:4
	ds_store_2addr_b32 v66, v28, v19 offset1:4
	;; [unrolled: 1-line block ×7, first 2 shown]
	s_and_saveexec_b32 s1, s0
	s_cbranch_execz .LBB0_35
; %bb.34:
	v_and_or_b32 v10, 0x6f8, v57, v51
	s_delay_alu instid0(VALU_DEP_1)
	v_lshl_add_u32 v10, v10, 2, 0
	ds_store_2addr_b32 v10, v35, v36 offset1:4
.LBB0_35:
	s_wait_alu 0xfffe
	s_or_b32 exec_lo, exec_lo, s1
	v_add_nc_u32_e32 v14, 0xa00, v0
	global_wb scope:SCOPE_SE
	s_wait_dscnt 0x0
	s_barrier_signal -1
	s_barrier_wait -1
	global_inv scope:SCOPE_SE
	ds_load_2addr_b32 v[10:11], v0 offset1:112
	ds_load_2addr_b32 v[20:21], v14 offset0:32 offset1:200
	v_add_nc_u32_e32 v14, 0xe00, v0
	v_add_nc_u32_e32 v15, 0x200, v0
	v_add_nc_u32_e32 v18, 0x1200, v0
	v_add_nc_u32_e32 v28, 0x600, v0
	v_add_nc_u32_e32 v32, 0x1400, v0
	ds_load_2addr_b32 v[30:31], v14 offset0:56 offset1:168
	ds_load_2addr_b32 v[22:23], v15 offset0:96 offset1:208
	;; [unrolled: 1-line block ×5, first 2 shown]
	s_and_saveexec_b32 s1, s0
	s_cbranch_execz .LBB0_37
; %bb.36:
	ds_load_b32 v35, v0 offset:3136
	ds_load_b32 v36, v0 offset:6496
.LBB0_37:
	s_wait_alu 0xfffe
	s_or_b32 exec_lo, exec_lo, s1
	v_and_b32_e32 v37, 7, v3
	s_delay_alu instid0(VALU_DEP_1)
	v_lshlrev_b32_e32 v32, 3, v37
	v_and_or_b32 v44, 0x7f0, v58, v37
	global_load_b64 v[32:33], v32, s[4:5] offset:48
	v_lshl_add_u32 v46, v44, 2, 0
	global_wb scope:SCOPE_SE
	s_wait_loadcnt_dscnt 0x0
	s_barrier_signal -1
	s_barrier_wait -1
	global_inv scope:SCOPE_SE
	v_mul_f32_e32 v50, v19, v33
	v_mul_f32_e32 v44, v21, v33
	;; [unrolled: 1-line block ×5, first 2 shown]
	v_fma_f32 v50, v9, v32, -v50
	v_mul_f32_e32 v47, v31, v33
	v_mul_f32_e32 v52, v15, v33
	v_fma_f32 v44, v7, v32, -v44
	v_fma_f32 v51, v4, v32, -v51
	v_sub_f32_e32 v50, v26, v50
	v_mul_f32_e32 v58, v36, v33
	v_fma_f32 v45, v12, v32, -v45
	v_fma_f32 v47, v13, v32, -v47
	v_sub_f32_e32 v51, v27, v51
	v_fma_f32 v49, v8, v32, -v49
	v_and_or_b32 v38, 0xf0, v64, v37
	v_and_or_b32 v39, 0x1f0, v63, v37
	;; [unrolled: 1-line block ×6, first 2 shown]
	v_fma_f32 v52, v5, v32, -v52
	v_fma_f32 v58, v48, v32, -v58
	v_sub_f32_e32 v59, v16, v44
	v_sub_f32_e32 v45, v17, v45
	s_delay_alu instid0(VALU_DEP_4) | instskip(NEXT) | instid1(VALU_DEP_4)
	v_dual_sub_f32 v47, v24, v47 :: v_dual_sub_f32 v52, v6, v52
	v_dual_sub_f32 v49, v25, v49 :: v_dual_sub_f32 v44, v34, v58
	v_lshl_add_u32 v38, v38, 2, 0
	v_lshl_add_u32 v39, v39, 2, 0
	;; [unrolled: 1-line block ×6, first 2 shown]
	v_fma_f32 v16, v16, 2.0, -v59
	v_fma_f32 v17, v17, 2.0, -v45
	v_fma_f32 v24, v24, 2.0, -v47
	v_fma_f32 v25, v25, 2.0, -v49
	v_fma_f32 v26, v26, 2.0, -v50
	v_fma_f32 v27, v27, 2.0, -v51
	v_fma_f32 v6, v6, 2.0, -v52
	ds_store_2addr_b32 v38, v16, v59 offset1:8
	ds_store_2addr_b32 v39, v17, v45 offset1:8
	;; [unrolled: 1-line block ×7, first 2 shown]
	s_and_saveexec_b32 s1, s0
	s_cbranch_execz .LBB0_39
; %bb.38:
	v_and_or_b32 v6, 0x6f0, v57, v37
	v_fma_f32 v16, v34, 2.0, -v44
	s_delay_alu instid0(VALU_DEP_2)
	v_lshl_add_u32 v6, v6, 2, 0
	ds_store_2addr_b32 v6, v16, v44 offset1:8
.LBB0_39:
	s_wait_alu 0xfffe
	s_or_b32 exec_lo, exec_lo, s1
	v_mul_f32_e32 v6, v7, v33
	v_mul_f32_e32 v7, v12, v33
	;; [unrolled: 1-line block ×4, first 2 shown]
	v_add_nc_u32_e32 v26, 0x1000, v0
	v_add_nc_u32_e32 v24, 0x200, v0
	v_fmac_f32_e32 v7, v30, v32
	v_fmac_f32_e32 v9, v19, v32
	;; [unrolled: 1-line block ×3, first 2 shown]
	v_dual_mul_f32 v5, v5, v33 :: v_dual_fmac_f32 v12, v31, v32
	s_delay_alu instid0(VALU_DEP_3) | instskip(NEXT) | instid1(VALU_DEP_3)
	v_dual_sub_f32 v50, v28, v9 :: v_dual_add_nc_u32 v21, 0x600, v0
	v_sub_f32_e32 v30, v10, v6
	s_delay_alu instid0(VALU_DEP_3) | instskip(SKIP_2) | instid1(VALU_DEP_3)
	v_dual_mul_f32 v8, v8, v33 :: v_dual_fmac_f32 v5, v15, v32
	v_dual_mul_f32 v27, v48, v33 :: v_dual_sub_f32 v34, v11, v7
	v_add_nc_u32_e32 v31, 0xa00, v0
	v_fmac_f32_e32 v8, v18, v32
	v_mul_f32_e32 v4, v4, v33
	s_delay_alu instid0(VALU_DEP_4)
	v_fmac_f32_e32 v27, v36, v32
	v_add_nc_u32_e32 v33, 0xc00, v0
	v_fma_f32 v36, v10, 2.0, -v30
	v_sub_f32_e32 v49, v23, v8
	v_dual_fmac_f32 v4, v14, v32 :: v_dual_sub_f32 v5, v20, v5
	v_add_nc_u32_e32 v32, 0x1400, v0
	v_fma_f32 v47, v11, 2.0, -v34
	v_dual_sub_f32 v48, v22, v12 :: v_dual_sub_f32 v45, v35, v27
	global_wb scope:SCOPE_SE
	s_wait_dscnt 0x0
	s_barrier_signal -1
	s_barrier_wait -1
	global_inv scope:SCOPE_SE
	ds_load_2addr_b32 v[8:9], v0 offset1:112
	ds_load_2addr_b32 v[6:7], v21 offset0:64 offset1:176
	ds_load_2addr_b32 v[18:19], v26 offset0:96 offset1:208
	;; [unrolled: 1-line block ×6, first 2 shown]
	ds_load_b32 v25, v0 offset:6272
	v_sub_f32_e32 v4, v29, v4
	v_fma_f32 v22, v22, 2.0, -v48
	v_fma_f32 v23, v23, 2.0, -v49
	;; [unrolled: 1-line block ×5, first 2 shown]
	global_wb scope:SCOPE_SE
	s_wait_dscnt 0x0
	s_barrier_signal -1
	s_barrier_wait -1
	global_inv scope:SCOPE_SE
	ds_store_2addr_b32 v38, v36, v30 offset1:8
	ds_store_2addr_b32 v39, v47, v34 offset1:8
	;; [unrolled: 1-line block ×7, first 2 shown]
	s_and_saveexec_b32 s1, s0
	s_cbranch_execz .LBB0_41
; %bb.40:
	v_and_or_b32 v4, 0x6f0, v57, v37
	v_fma_f32 v5, v35, 2.0, -v45
	s_delay_alu instid0(VALU_DEP_2)
	v_lshl_add_u32 v4, v4, 2, 0
	ds_store_2addr_b32 v4, v5, v45 offset1:8
.LBB0_41:
	s_wait_alu 0xfffe
	s_or_b32 exec_lo, exec_lo, s1
	v_and_b32_e32 v20, 15, v3
	global_wb scope:SCOPE_SE
	s_wait_dscnt 0x0
	s_barrier_signal -1
	s_barrier_wait -1
	global_inv scope:SCOPE_SE
	v_lshlrev_b32_e32 v4, 4, v20
	v_lshrrev_b32_e32 v34, 4, v53
	v_lshrrev_b32_e32 v43, 4, v54
	;; [unrolled: 1-line block ×4, first 2 shown]
	global_load_b128 v[65:68], v4, s[4:5] offset:112
	ds_load_2addr_b32 v[27:28], v0 offset1:112
	ds_load_2addr_b32 v[4:5], v21 offset0:64 offset1:176
	ds_load_2addr_b32 v[22:23], v26 offset0:96 offset1:208
	ds_load_2addr_b32 v[61:62], v31 offset0:32 offset1:144
	ds_load_2addr_b32 v[29:30], v24 offset0:96 offset1:208
	ds_load_2addr_b32 v[69:70], v32 offset0:64 offset1:176
	ds_load_2addr_b32 v[71:72], v33 offset0:128 offset1:240
	ds_load_b32 v26, v0 offset:6272
	v_lshrrev_b32_e32 v33, 4, v3
	v_mul_u32_u24_e32 v34, 48, v34
	v_mul_u32_u24_e32 v39, 48, v43
	;; [unrolled: 1-line block ×5, first 2 shown]
	v_add_nc_u32_e32 v32, 0xe00, v0
	v_add_nc_u32_e32 v35, 0x1200, v0
	v_add_nc_u32_e32 v36, 0x1600, v0
	global_wb scope:SCOPE_SE
	s_wait_loadcnt_dscnt 0x0
	s_barrier_signal -1
	s_barrier_wait -1
	global_inv scope:SCOPE_SE
	v_cmp_gt_u32_e64 s0, 16, v3
	v_mul_f32_e32 v47, v13, v66
	v_mul_f32_e32 v51, v18, v68
	v_or_b32_e32 v33, v33, v20
	v_or_b32_e32 v34, v34, v20
	;; [unrolled: 1-line block ×5, first 2 shown]
	v_mul_f32_e32 v49, v61, v66
	v_mul_f32_e32 v57, v16, v66
	v_dual_mul_f32 v55, v23, v68 :: v_dual_mul_f32 v56, v62, v66
	v_lshl_add_u32 v39, v33, 2, 0
	v_lshl_add_u32 v33, v20, 2, 0
	v_mul_f32_e32 v20, v5, v66
	v_dual_mul_f32 v60, v7, v66 :: v_dual_mul_f32 v73, v69, v68
	v_dual_mul_f32 v46, v22, v68 :: v_dual_fmac_f32 v57, v61, v65
	v_dual_mul_f32 v52, v17, v66 :: v_dual_mul_f32 v75, v70, v68
	v_mul_f32_e32 v74, v71, v66
	v_fma_f32 v58, v16, v65, -v49
	v_fma_f32 v61, v19, v67, -v55
	v_lshl_add_u32 v38, v34, 2, 0
	v_lshl_add_u32 v37, v40, 2, 0
	;; [unrolled: 1-line block ×3, first 2 shown]
	v_dual_mul_f32 v41, v25, v68 :: v_dual_mul_f32 v42, v12, v66
	v_mul_f32_e32 v76, v72, v66
	v_fma_f32 v63, v7, v65, -v20
	v_mul_f32_e32 v40, v15, v68
	v_fma_f32 v59, v17, v65, -v56
	v_fmac_f32_e32 v60, v5, v65
	v_fma_f32 v5, v12, v65, -v74
	v_fma_f32 v55, v15, v67, -v75
	v_add_f32_e32 v15, v58, v61
	v_dual_add_f32 v17, v10, v59 :: v_dual_mul_f32 v50, v19, v68
	v_fmac_f32_e32 v51, v22, v67
	v_dual_mul_f32 v48, v14, v68 :: v_dual_fmac_f32 v47, v72, v65
	v_mul_f32_e32 v66, v26, v68
	v_fma_f32 v64, v18, v67, -v46
	v_fma_f32 v49, v13, v65, -v76
	v_sub_f32_e32 v13, v60, v51
	v_dual_fmac_f32 v41, v26, v67 :: v_dual_fmac_f32 v42, v71, v65
	v_dual_add_f32 v7, v8, v63 :: v_dual_fmac_f32 v52, v62, v65
	v_fma_f32 v62, v14, v67, -v73
	v_add_f32_e32 v20, v11, v5
	v_dual_add_f32 v14, v9, v58 :: v_dual_fmac_f32 v9, -0.5, v15
	v_add_f32_e32 v22, v5, v55
	v_fmac_f32_e32 v40, v70, v67
	v_fma_f32 v56, v25, v67, -v66
	v_dual_add_f32 v12, v63, v64 :: v_dual_add_f32 v25, v6, v49
	v_add_f32_e32 v18, v59, v62
	v_add_f32_e32 v7, v7, v64
	v_dual_fmac_f32 v11, -0.5, v22 :: v_dual_fmac_f32 v48, v69, v67
	v_dual_fmac_f32 v50, v23, v67 :: v_dual_sub_f32 v23, v42, v40
	v_add_f32_e32 v26, v49, v56
	v_fma_f32 v8, -0.5, v12, v8
	s_delay_alu instid0(VALU_DEP_3)
	v_dual_sub_f32 v19, v52, v48 :: v_dual_sub_f32 v16, v57, v50
	v_dual_add_f32 v15, v20, v55 :: v_dual_add_f32 v12, v14, v61
	v_add_f32_e32 v14, v17, v62
	v_add_f32_e32 v17, v25, v56
	v_fma_f32 v10, -0.5, v18, v10
	v_sub_f32_e32 v46, v47, v41
	v_fmamk_f32 v18, v13, 0x3f5db3d7, v8
	v_fmac_f32_e32 v8, 0xbf5db3d7, v13
	v_fmamk_f32 v13, v16, 0x3f5db3d7, v9
	v_fmac_f32_e32 v9, 0xbf5db3d7, v16
	;; [unrolled: 2-line block ×3, first 2 shown]
	v_fmamk_f32 v19, v23, 0x3f5db3d7, v11
	v_dual_fmac_f32 v11, 0xbf5db3d7, v23 :: v_dual_fmac_f32 v6, -0.5, v26
	s_delay_alu instid0(VALU_DEP_1)
	v_fmamk_f32 v20, v46, 0x3f5db3d7, v6
	v_fmac_f32_e32 v6, 0xbf5db3d7, v46
	ds_store_2addr_b32 v39, v7, v18 offset1:16
	ds_store_b32 v39, v8 offset:128
	ds_store_2addr_b32 v38, v12, v13 offset1:16
	ds_store_b32 v38, v9 offset:128
	;; [unrolled: 2-line block ×5, first 2 shown]
	global_wb scope:SCOPE_SE
	s_wait_dscnt 0x0
	s_barrier_signal -1
	s_barrier_wait -1
	global_inv scope:SCOPE_SE
	ds_load_2addr_b32 v[9:10], v0 offset1:112
	ds_load_2addr_b32 v[25:26], v24 offset0:112 offset1:224
	ds_load_2addr_b32 v[23:24], v21 offset0:96 offset1:208
	;; [unrolled: 1-line block ×6, first 2 shown]
                                        ; implicit-def: $vgpr21
                                        ; implicit-def: $vgpr19
                                        ; implicit-def: $vgpr46
	s_and_saveexec_b32 s1, s0
	s_cbranch_execz .LBB0_43
; %bb.42:
	v_add_nc_u32_e32 v6, 0x380, v0
	v_add_nc_u32_e32 v8, 0xb00, v0
	;; [unrolled: 1-line block ×3, first 2 shown]
	ds_load_2addr_b32 v[6:7], v6 offset1:240
	ds_load_2addr_b32 v[21:22], v8 offset1:240
	;; [unrolled: 1-line block ×3, first 2 shown]
	ds_load_b32 v46, v0 offset:6656
	s_wait_dscnt 0x3
	v_mov_b32_e32 v44, v7
.LBB0_43:
	s_wait_alu 0xfffe
	s_or_b32 exec_lo, exec_lo, s1
	v_dual_add_f32 v7, v60, v51 :: v_dual_add_f32 v8, v27, v60
	v_dual_sub_f32 v31, v63, v64 :: v_dual_add_f32 v60, v57, v50
	global_wb scope:SCOPE_SE
	s_wait_dscnt 0x0
	v_fma_f32 v7, -0.5, v7, v27
	v_add_f32_e32 v27, v28, v57
	v_add_f32_e32 v57, v52, v48
	;; [unrolled: 1-line block ×3, first 2 shown]
	s_delay_alu instid0(VALU_DEP_4)
	v_dual_fmac_f32 v28, -0.5, v60 :: v_dual_fmamk_f32 v51, v31, 0xbf5db3d7, v7
	v_fmac_f32_e32 v7, 0x3f5db3d7, v31
	v_dual_add_f32 v27, v27, v50 :: v_dual_add_f32 v50, v29, v52
	v_sub_f32_e32 v52, v59, v62
	v_fma_f32 v29, -0.5, v57, v29
	v_sub_f32_e32 v31, v58, v61
	s_barrier_signal -1
	s_barrier_wait -1
	global_inv scope:SCOPE_SE
	v_sub_f32_e32 v5, v5, v55
	v_fmamk_f32 v57, v31, 0xbf5db3d7, v28
	v_dual_fmac_f32 v28, 0x3f5db3d7, v31 :: v_dual_add_f32 v31, v50, v48
	v_add_f32_e32 v48, v42, v40
	v_fmamk_f32 v50, v52, 0xbf5db3d7, v29
	v_dual_fmac_f32 v29, 0x3f5db3d7, v52 :: v_dual_add_f32 v42, v30, v42
	v_add_f32_e32 v52, v47, v41
	s_delay_alu instid0(VALU_DEP_4) | instskip(NEXT) | instid1(VALU_DEP_2)
	v_dual_fmac_f32 v30, -0.5, v48 :: v_dual_add_f32 v47, v4, v47
	v_fmac_f32_e32 v4, -0.5, v52
	v_sub_f32_e32 v48, v49, v56
	v_add_f32_e32 v40, v42, v40
	s_delay_alu instid0(VALU_DEP_4)
	v_fmamk_f32 v42, v5, 0xbf5db3d7, v30
	v_fmac_f32_e32 v30, 0x3f5db3d7, v5
	v_add_f32_e32 v5, v47, v41
	v_fmamk_f32 v41, v48, 0xbf5db3d7, v4
	v_fmac_f32_e32 v4, 0x3f5db3d7, v48
	ds_store_2addr_b32 v39, v8, v51 offset1:16
	ds_store_b32 v39, v7 offset:128
	ds_store_2addr_b32 v38, v27, v57 offset1:16
	ds_store_b32 v38, v28 offset:128
	;; [unrolled: 2-line block ×5, first 2 shown]
	v_add_nc_u32_e32 v5, 0x200, v0
	v_add_nc_u32_e32 v27, 0x600, v0
	v_add_nc_u32_e32 v28, 0xa00, v0
	global_wb scope:SCOPE_SE
	s_wait_dscnt 0x0
	s_barrier_signal -1
	s_barrier_wait -1
	global_inv scope:SCOPE_SE
	ds_load_2addr_b32 v[7:8], v0 offset1:112
	ds_load_2addr_b32 v[41:42], v5 offset0:112 offset1:224
	ds_load_2addr_b32 v[39:40], v27 offset0:96 offset1:208
	;; [unrolled: 1-line block ×6, first 2 shown]
                                        ; implicit-def: $vgpr37
                                        ; implicit-def: $vgpr35
                                        ; implicit-def: $vgpr50
	s_and_saveexec_b32 s1, s0
	s_cbranch_execz .LBB0_45
; %bb.44:
	v_add_nc_u32_e32 v4, 0x380, v0
	v_add_nc_u32_e32 v35, 0xb00, v0
	;; [unrolled: 1-line block ×3, first 2 shown]
	ds_load_2addr_b32 v[4:5], v4 offset1:240
	ds_load_2addr_b32 v[37:38], v35 offset1:240
	;; [unrolled: 1-line block ×3, first 2 shown]
	ds_load_b32 v50, v0 offset:6656
	s_wait_dscnt 0x3
	v_mov_b32_e32 v45, v5
.LBB0_45:
	s_wait_alu 0xfffe
	s_or_b32 exec_lo, exec_lo, s1
	v_and_b32_e32 v5, 0xff, v3
	s_delay_alu instid0(VALU_DEP_1) | instskip(NEXT) | instid1(VALU_DEP_1)
	v_mul_lo_u16 v5, 0xab, v5
	v_lshrrev_b16 v5, 13, v5
	s_delay_alu instid0(VALU_DEP_1) | instskip(NEXT) | instid1(VALU_DEP_1)
	v_mul_lo_u16 v48, v5, 48
	v_sub_nc_u16 v48, v3, v48
	s_delay_alu instid0(VALU_DEP_1) | instskip(NEXT) | instid1(VALU_DEP_1)
	v_and_b32_e32 v48, 0xff, v48
	v_mul_u32_u24_e32 v51, 6, v48
	s_delay_alu instid0(VALU_DEP_1)
	v_lshlrev_b32_e32 v51, 3, v51
	s_clause 0x1
	global_load_b128 v[63:66], v51, s[4:5] offset:368
	global_load_b128 v[67:70], v51, s[4:5] offset:384
	v_and_b32_e32 v47, 0xff, v53
	v_and_b32_e32 v52, 0xffff, v54
	s_delay_alu instid0(VALU_DEP_2) | instskip(NEXT) | instid1(VALU_DEP_2)
	v_mul_lo_u16 v47, 0xab, v47
	v_mul_u32_u24_e32 v52, 0xaaab, v52
	s_delay_alu instid0(VALU_DEP_2) | instskip(NEXT) | instid1(VALU_DEP_2)
	v_lshrrev_b16 v47, 13, v47
	v_lshrrev_b32_e32 v52, 21, v52
	s_delay_alu instid0(VALU_DEP_2) | instskip(NEXT) | instid1(VALU_DEP_2)
	v_mul_lo_u16 v49, v47, 48
	v_mul_lo_u16 v52, v52, 48
	s_delay_alu instid0(VALU_DEP_2) | instskip(SKIP_1) | instid1(VALU_DEP_1)
	v_sub_nc_u16 v49, v53, v49
	s_wait_loadcnt 0x1
	v_dual_mul_f32 v58, v23, v66 :: v_dual_and_b32 v49, 0xff, v49
	s_wait_loadcnt 0x0
	v_mul_f32_e32 v56, v17, v68
	s_delay_alu instid0(VALU_DEP_2)
	v_mul_u32_u24_e32 v55, 6, v49
	v_and_b32_e32 v47, 0xffff, v47
	v_mul_f32_e32 v59, v15, v70
	s_wait_dscnt 0x4
	v_fmac_f32_e32 v58, v39, v65
	s_wait_dscnt 0x3
	v_fmac_f32_e32 v56, v33, v67
	v_lshlrev_b32_e32 v55, 3, v55
	s_clause 0x1
	global_load_b128 v[71:74], v51, s[4:5] offset:400
	global_load_b128 v[75:78], v55, s[4:5] offset:368
	v_sub_nc_u16 v51, v54, v52
	s_clause 0x1
	global_load_b128 v[79:82], v55, s[4:5] offset:384
	global_load_b128 v[83:86], v55, s[4:5] offset:400
	v_and_b32_e32 v5, 0xffff, v5
	v_mul_f32_e32 v57, v25, v64
	v_and_b32_e32 v51, 0xffff, v51
	v_lshlrev_b32_e32 v55, 2, v49
	s_delay_alu instid0(VALU_DEP_3) | instskip(NEXT) | instid1(VALU_DEP_3)
	v_fmac_f32_e32 v57, v41, v63
	v_mul_u32_u24_e32 v52, 6, v51
	s_delay_alu instid0(VALU_DEP_1)
	v_lshlrev_b32_e32 v52, 3, v52
	s_clause 0x2
	global_load_b128 v[87:90], v52, s[4:5] offset:368
	global_load_b128 v[91:94], v52, s[4:5] offset:384
	;; [unrolled: 1-line block ×3, first 2 shown]
	v_mul_u32_u24_e32 v52, 0x540, v47
	v_lshl_add_u32 v47, v51, 2, 0
	v_dual_mul_f32 v51, v39, v66 :: v_dual_lshlrev_b32 v48, 2, v48
	s_wait_dscnt 0x2
	v_mul_f32_e32 v66, v31, v70
	global_wb scope:SCOPE_SE
	s_wait_loadcnt_dscnt 0x0
	s_barrier_signal -1
	v_fma_f32 v60, v23, v65, -v51
	s_barrier_wait -1
	v_fma_f32 v15, v15, v69, -v66
	global_inv scope:SCOPE_SE
	v_mul_f32_e32 v61, v13, v72
	v_mul_f32_e32 v65, v27, v74
	v_mul_f32_e32 v39, v26, v76
	v_mul_f32_e32 v70, v34, v80
	v_mul_u32_u24_e32 v5, 0x540, v5
	v_mul_f32_e32 v23, v40, v78
	s_delay_alu instid0(VALU_DEP_4) | instskip(NEXT) | instid1(VALU_DEP_3)
	v_fmac_f32_e32 v39, v42, v75
	v_add3_u32 v49, 0, v5, v48
	v_mul_f32_e32 v5, v41, v64
	v_add3_u32 v48, 0, v52, v55
	v_mul_f32_e32 v64, v33, v68
	v_mul_f32_e32 v68, v29, v72
	;; [unrolled: 1-line block ×3, first 2 shown]
	v_fma_f32 v62, v25, v63, -v5
	v_mul_f32_e32 v63, v11, v74
	v_mul_f32_e32 v41, v24, v78
	;; [unrolled: 1-line block ×4, first 2 shown]
	v_fma_f32 v5, v26, v75, -v52
	v_mul_f32_e32 v42, v18, v80
	v_mul_f32_e32 v52, v16, v82
	v_dual_mul_f32 v75, v28, v86 :: v_dual_mul_f32 v76, v45, v88
	v_fma_f32 v51, v24, v77, -v23
	s_delay_alu instid0(VALU_DEP_4) | instskip(SKIP_4) | instid1(VALU_DEP_3)
	v_fmac_f32_e32 v42, v34, v79
	v_fma_f32 v17, v17, v67, -v64
	v_dual_mul_f32 v24, v22, v92 :: v_dual_fmac_f32 v41, v40, v77
	v_mul_f32_e32 v26, v19, v94
	v_mul_f32_e32 v40, v14, v84
	v_dual_mul_f32 v23, v44, v88 :: v_dual_fmac_f32 v24, v38, v91
	v_fma_f32 v33, v13, v71, -v68
	v_fma_f32 v64, v11, v73, -v65
	;; [unrolled: 1-line block ×5, first 2 shown]
	v_dual_mul_f32 v55, v12, v86 :: v_dual_fmac_f32 v40, v30, v83
	v_dual_mul_f32 v77, v37, v90 :: v_dual_fmac_f32 v52, v32, v81
	v_dual_fmac_f32 v59, v31, v69 :: v_dual_add_f32 v16, v62, v64
	v_fmac_f32_e32 v61, v29, v71
	v_dual_fmac_f32 v63, v27, v73 :: v_dual_add_f32 v34, v17, v15
	v_mul_f32_e32 v31, v38, v92
	v_fma_f32 v12, v12, v85, -v75
	v_dual_fmac_f32 v23, v45, v87 :: v_dual_add_f32 v38, v51, v14
	v_add_f32_e32 v45, v11, v13
	v_mul_f32_e32 v27, v20, v96
	v_dual_mul_f32 v25, v21, v90 :: v_dual_fmac_f32 v26, v35, v93
	v_dual_mul_f32 v66, v35, v94 :: v_dual_mul_f32 v65, v36, v96
	v_sub_f32_e32 v32, v58, v61
	v_mul_f32_e32 v67, v50, v98
	v_sub_f32_e32 v35, v59, v56
	v_dual_fmac_f32 v27, v36, v95 :: v_dual_add_f32 v36, v5, v12
	v_mul_f32_e32 v29, v46, v98
	v_fma_f32 v30, v19, v93, -v66
	v_add_f32_e32 v19, v60, v33
	s_delay_alu instid0(VALU_DEP_4)
	v_dual_fmac_f32 v25, v37, v89 :: v_dual_add_f32 v68, v38, v36
	v_fmac_f32_e32 v55, v28, v85
	v_fma_f32 v28, v44, v87, -v76
	v_fma_f32 v20, v20, v95, -v65
	v_sub_f32_e32 v18, v57, v63
	v_fma_f32 v22, v22, v91, -v31
	v_fma_f32 v31, v46, v97, -v67
	v_dual_sub_f32 v44, v41, v40 :: v_dual_fmac_f32 v29, v50, v97
	v_sub_f32_e32 v46, v52, v42
	v_add_f32_e32 v50, v19, v16
	v_sub_f32_e32 v37, v39, v55
	v_dual_sub_f32 v65, v19, v16 :: v_dual_sub_f32 v16, v16, v34
	v_sub_f32_e32 v19, v34, v19
	v_add_f32_e32 v70, v46, v44
	s_delay_alu instid0(VALU_DEP_4)
	v_dual_sub_f32 v71, v46, v44 :: v_dual_sub_f32 v46, v37, v46
	v_add_f32_e32 v34, v34, v50
	v_mul_f32_e32 v16, 0x3f4a47b2, v16
	v_dual_sub_f32 v69, v38, v36 :: v_dual_mul_f32 v50, 0x3d64c772, v19
	v_sub_f32_e32 v36, v36, v45
	v_add_f32_e32 v66, v35, v32
	v_dual_sub_f32 v67, v35, v32 :: v_dual_sub_f32 v32, v32, v18
	s_delay_alu instid0(VALU_DEP_3)
	v_dual_sub_f32 v35, v18, v35 :: v_dual_mul_f32 v36, 0x3f4a47b2, v36
	v_sub_f32_e32 v38, v45, v38
	v_sub_f32_e32 v44, v44, v37
	v_add_f32_e32 v18, v66, v18
	v_mul_f32_e32 v66, 0xbf08b237, v67
	v_mul_f32_e32 v67, 0x3f5ff5aa, v32
	v_dual_add_f32 v45, v45, v68 :: v_dual_mul_f32 v68, 0x3d64c772, v38
	v_dual_add_f32 v9, v9, v34 :: v_dual_fmamk_f32 v38, v38, 0x3d64c772, v36
	v_dual_add_f32 v37, v70, v37 :: v_dual_mul_f32 v70, 0xbf08b237, v71
	s_delay_alu instid0(VALU_DEP_3)
	v_dual_mul_f32 v71, 0x3f5ff5aa, v44 :: v_dual_add_f32 v10, v10, v45
	v_fma_f32 v50, 0x3f3bfb3b, v65, -v50
	v_fma_f32 v32, 0x3f5ff5aa, v32, -v66
	v_fmamk_f32 v34, v34, 0xbf955555, v9
	v_fmamk_f32 v19, v19, 0x3d64c772, v16
	v_fma_f32 v16, 0xbf3bfb3b, v65, -v16
	v_fmamk_f32 v65, v35, 0x3eae86e6, v66
	v_fma_f32 v35, 0xbeae86e6, v35, -v67
	v_fma_f32 v36, 0xbf3bfb3b, v69, -v36
	;; [unrolled: 1-line block ×3, first 2 shown]
	v_fmac_f32_e32 v32, 0x3ee1c552, v18
	v_fmac_f32_e32 v65, 0x3ee1c552, v18
	;; [unrolled: 1-line block ×3, first 2 shown]
	v_add_f32_e32 v16, v16, v34
	v_fmamk_f32 v18, v45, 0xbf955555, v10
	v_fmamk_f32 v67, v46, 0x3eae86e6, v70
	v_fma_f32 v46, 0xbeae86e6, v46, -v71
	v_fma_f32 v66, 0x3f3bfb3b, v69, -v68
	v_fmac_f32_e32 v44, 0x3ee1c552, v37
	v_fma_f32 v21, v21, v89, -v77
	v_fmac_f32_e32 v67, 0x3ee1c552, v37
	v_dual_fmac_f32 v46, 0x3ee1c552, v37 :: v_dual_add_f32 v45, v35, v16
	v_add_f32_e32 v19, v19, v34
	v_add_f32_e32 v37, v50, v34
	;; [unrolled: 1-line block ×5, first 2 shown]
	v_dual_add_f32 v36, v65, v19 :: v_dual_sub_f32 v19, v19, v65
	v_sub_f32_e32 v50, v37, v32
	s_delay_alu instid0(VALU_DEP_3)
	v_dual_add_f32 v32, v32, v37 :: v_dual_add_f32 v37, v46, v18
	v_dual_sub_f32 v16, v16, v35 :: v_dual_sub_f32 v65, v38, v44
	v_add_f32_e32 v35, v67, v34
	v_add_f32_e32 v38, v44, v38
	v_sub_f32_e32 v18, v18, v46
	v_sub_f32_e32 v34, v34, v67
	ds_store_2addr_b32 v49, v9, v36 offset1:48
	ds_store_2addr_b32 v49, v45, v50 offset0:96 offset1:144
	ds_store_2addr_b32 v49, v32, v16 offset0:192 offset1:240
	ds_store_b32 v49, v19 offset:1152
	ds_store_2addr_b32 v48, v10, v35 offset1:48
	ds_store_2addr_b32 v48, v37, v65 offset0:96 offset1:144
	ds_store_2addr_b32 v48, v38, v18 offset0:192 offset1:240
	ds_store_b32 v48, v34 offset:1152
	s_and_saveexec_b32 s1, s0
	s_cbranch_execz .LBB0_47
; %bb.46:
	v_dual_add_f32 v9, v28, v31 :: v_dual_add_f32 v10, v22, v30
	v_dual_add_f32 v16, v21, v20 :: v_dual_sub_f32 v35, v23, v29
	v_sub_f32_e32 v18, v26, v24
	v_sub_f32_e32 v34, v25, v27
	s_delay_alu instid0(VALU_DEP_3) | instskip(SKIP_1) | instid1(VALU_DEP_3)
	v_dual_sub_f32 v19, v9, v10 :: v_dual_add_f32 v32, v16, v9
	v_dual_sub_f32 v36, v10, v16 :: v_dual_sub_f32 v9, v16, v9
	v_sub_f32_e32 v37, v34, v35
	s_delay_alu instid0(VALU_DEP_3) | instskip(NEXT) | instid1(VALU_DEP_3)
	v_dual_mul_f32 v19, 0x3f4a47b2, v19 :: v_dual_add_f32 v10, v10, v32
	v_mul_f32_e32 v38, 0x3d64c772, v36
	v_sub_f32_e32 v32, v18, v34
	s_delay_alu instid0(VALU_DEP_4) | instskip(NEXT) | instid1(VALU_DEP_4)
	v_mul_f32_e32 v16, 0x3f5ff5aa, v37
	v_add_f32_e32 v6, v6, v10
	s_delay_alu instid0(VALU_DEP_3) | instskip(NEXT) | instid1(VALU_DEP_2)
	v_mul_f32_e32 v32, 0xbf08b237, v32
	v_fmamk_f32 v10, v10, 0xbf955555, v6
	v_fmamk_f32 v36, v36, 0x3d64c772, v19
	v_fma_f32 v19, 0xbf3bfb3b, v9, -v19
	v_fma_f32 v9, 0x3f3bfb3b, v9, -v38
	s_delay_alu instid0(VALU_DEP_2) | instskip(NEXT) | instid1(VALU_DEP_2)
	v_add_f32_e32 v19, v19, v10
	v_add_f32_e32 v9, v9, v10
	v_sub_f32_e32 v44, v35, v18
	v_add_f32_e32 v18, v18, v34
	v_fma_f32 v34, 0x3f5ff5aa, v37, -v32
	v_add_f32_e32 v10, v36, v10
	v_add_nc_u32_e32 v36, 0x1400, v47
	s_delay_alu instid0(VALU_DEP_4) | instskip(NEXT) | instid1(VALU_DEP_1)
	v_add_f32_e32 v18, v18, v35
	v_fmac_f32_e32 v34, 0x3ee1c552, v18
	s_delay_alu instid0(VALU_DEP_1) | instskip(SKIP_2) | instid1(VALU_DEP_3)
	v_dual_add_f32 v35, v34, v9 :: v_dual_fmamk_f32 v32, v44, 0x3eae86e6, v32
	v_fma_f32 v16, 0xbeae86e6, v44, -v16
	v_sub_f32_e32 v9, v9, v34
	v_fmac_f32_e32 v32, 0x3ee1c552, v18
	s_delay_alu instid0(VALU_DEP_3) | instskip(NEXT) | instid1(VALU_DEP_2)
	v_fmac_f32_e32 v16, 0x3ee1c552, v18
	v_add_f32_e32 v34, v32, v10
	s_delay_alu instid0(VALU_DEP_2)
	v_sub_f32_e32 v18, v19, v16
	v_add_f32_e32 v16, v16, v19
	v_dual_sub_f32 v10, v10, v32 :: v_dual_add_nc_u32 v19, 0x1800, v47
	ds_store_2addr_b32 v36, v6, v34 offset0:64 offset1:112
	ds_store_2addr_b32 v36, v16, v9 offset0:160 offset1:208
	ds_store_2addr_b32 v19, v35, v18 offset1:48
	ds_store_b32 v47, v10 offset:6528
.LBB0_47:
	s_wait_alu 0xfffe
	s_or_b32 exec_lo, exec_lo, s1
	v_dual_add_f32 v6, v57, v63 :: v_dual_add_f32 v9, v58, v61
	v_dual_sub_f32 v10, v62, v64 :: v_dual_sub_f32 v15, v15, v17
	v_add_f32_e32 v16, v56, v59
	s_delay_alu instid0(VALU_DEP_3)
	v_dual_sub_f32 v18, v60, v33 :: v_dual_sub_f32 v19, v9, v6
	v_add_f32_e32 v17, v9, v6
	global_wb scope:SCOPE_SE
	s_wait_dscnt 0x0
	v_dual_sub_f32 v6, v6, v16 :: v_dual_sub_f32 v9, v16, v9
	v_add_f32_e32 v32, v15, v18
	v_dual_add_f32 v16, v16, v17 :: v_dual_sub_f32 v17, v15, v18
	v_sub_f32_e32 v15, v10, v15
	v_sub_f32_e32 v18, v18, v10
	s_delay_alu instid0(VALU_DEP_4) | instskip(NEXT) | instid1(VALU_DEP_4)
	v_add_f32_e32 v10, v32, v10
	v_dual_add_f32 v32, v7, v16 :: v_dual_mul_f32 v17, 0xbf08b237, v17
	v_mul_f32_e32 v7, 0x3d64c772, v9
	s_delay_alu instid0(VALU_DEP_4)
	v_mul_f32_e32 v33, 0x3f5ff5aa, v18
	s_barrier_signal -1
	s_barrier_wait -1
	v_fmamk_f32 v34, v15, 0x3eae86e6, v17
	v_fma_f32 v7, 0x3f3bfb3b, v19, -v7
	v_fma_f32 v17, 0x3f5ff5aa, v18, -v17
	;; [unrolled: 1-line block ×3, first 2 shown]
	global_inv scope:SCOPE_SE
	v_fmac_f32_e32 v34, 0x3ee1c552, v10
	v_fmamk_f32 v16, v16, 0xbf955555, v32
	v_mul_f32_e32 v6, 0x3f4a47b2, v6
	v_fmac_f32_e32 v17, 0x3ee1c552, v10
	v_fmac_f32_e32 v15, 0x3ee1c552, v10
	v_dual_sub_f32 v10, v51, v14 :: v_dual_sub_f32 v5, v5, v12
	s_delay_alu instid0(VALU_DEP_4) | instskip(NEXT) | instid1(VALU_DEP_1)
	v_fmamk_f32 v9, v9, 0x3d64c772, v6
	v_add_f32_e32 v33, v9, v16
	v_fma_f32 v6, 0xbf3bfb3b, v19, -v6
	v_add_f32_e32 v9, v42, v52
	s_delay_alu instid0(VALU_DEP_2) | instskip(NEXT) | instid1(VALU_DEP_1)
	v_dual_sub_f32 v35, v33, v34 :: v_dual_add_f32 v6, v6, v16
	v_dual_add_f32 v7, v7, v16 :: v_dual_sub_f32 v36, v6, v15
	s_delay_alu instid0(VALU_DEP_1)
	v_sub_f32_e32 v38, v7, v17
	v_add_f32_e32 v44, v15, v6
	v_add_f32_e32 v6, v39, v55
	;; [unrolled: 1-line block ×4, first 2 shown]
	v_sub_f32_e32 v11, v13, v11
	v_add_nc_u32_e32 v17, 0x1000, v0
	s_delay_alu instid0(VALU_DEP_3) | instskip(SKIP_1) | instid1(VALU_DEP_4)
	v_dual_add_f32 v33, v34, v33 :: v_dual_add_f32 v12, v7, v6
	v_dual_sub_f32 v13, v7, v6 :: v_dual_sub_f32 v6, v6, v9
	v_dual_sub_f32 v7, v9, v7 :: v_dual_add_f32 v14, v11, v10
	s_delay_alu instid0(VALU_DEP_3) | instskip(SKIP_1) | instid1(VALU_DEP_3)
	v_dual_add_f32 v9, v9, v12 :: v_dual_sub_f32 v12, v11, v10
	v_dual_sub_f32 v11, v5, v11 :: v_dual_sub_f32 v10, v10, v5
	v_dual_add_f32 v5, v14, v5 :: v_dual_mul_f32 v6, 0x3f4a47b2, v6
	s_delay_alu instid0(VALU_DEP_3) | instskip(NEXT) | instid1(VALU_DEP_3)
	v_dual_add_f32 v39, v8, v9 :: v_dual_mul_f32 v8, 0x3d64c772, v7
	v_mul_f32_e32 v14, 0x3f5ff5aa, v10
	s_delay_alu instid0(VALU_DEP_2) | instskip(NEXT) | instid1(VALU_DEP_2)
	v_fma_f32 v8, 0x3f3bfb3b, v13, -v8
	v_fma_f32 v42, 0xbeae86e6, v11, -v14
	s_delay_alu instid0(VALU_DEP_1) | instskip(SKIP_3) | instid1(VALU_DEP_1)
	v_fmac_f32_e32 v42, 0x3ee1c552, v5
	v_fmamk_f32 v9, v9, 0xbf955555, v39
	v_fmamk_f32 v7, v7, 0x3d64c772, v6
	v_fma_f32 v6, 0xbf3bfb3b, v13, -v6
	v_add_f32_e32 v50, v6, v9
	s_delay_alu instid0(VALU_DEP_1) | instskip(SKIP_4) | instid1(VALU_DEP_2)
	v_dual_sub_f32 v51, v50, v42 :: v_dual_add_nc_u32 v16, 0x600, v0
	v_add_f32_e32 v42, v42, v50
	v_add_f32_e32 v46, v8, v9
	v_dual_mul_f32 v12, 0xbf08b237, v12 :: v_dual_add_f32 v45, v7, v9
	v_add_nc_u32_e32 v7, 0x200, v0
	v_fma_f32 v41, 0x3f5ff5aa, v10, -v12
	v_add_nc_u32_e32 v10, 0xc00, v0
	s_delay_alu instid0(VALU_DEP_2) | instskip(SKIP_1) | instid1(VALU_DEP_2)
	v_fmac_f32_e32 v41, 0x3ee1c552, v5
	v_fmamk_f32 v40, v11, 0x3eae86e6, v12
	v_dual_add_f32 v52, v41, v46 :: v_dual_add_nc_u32 v9, 0xa00, v0
	v_sub_f32_e32 v41, v46, v41
	s_delay_alu instid0(VALU_DEP_3)
	v_fmac_f32_e32 v40, 0x3ee1c552, v5
	v_add_nc_u32_e32 v15, 0x1400, v0
	ds_load_2addr_b32 v[5:6], v0 offset1:112
	ds_load_2addr_b32 v[7:8], v7 offset0:96 offset1:208
	v_sub_f32_e32 v34, v45, v40
	v_add_f32_e32 v40, v40, v45
	ds_load_2addr_b32 v[11:12], v9 offset0:32 offset1:144
	ds_load_2addr_b32 v[13:14], v10 offset0:128 offset1:240
	;; [unrolled: 1-line block ×5, first 2 shown]
	ds_load_b32 v19, v0 offset:6272
	global_wb scope:SCOPE_SE
	s_wait_dscnt 0x0
	s_barrier_signal -1
	s_barrier_wait -1
	global_inv scope:SCOPE_SE
	ds_store_2addr_b32 v49, v32, v35 offset1:48
	ds_store_2addr_b32 v49, v36, v37 offset0:96 offset1:144
	ds_store_2addr_b32 v49, v38, v44 offset0:192 offset1:240
	ds_store_b32 v49, v33 offset:1152
	ds_store_2addr_b32 v48, v39, v34 offset1:48
	ds_store_2addr_b32 v48, v51, v52 offset0:96 offset1:144
	ds_store_2addr_b32 v48, v41, v42 offset0:192 offset1:240
	ds_store_b32 v48, v40 offset:1152
	s_and_saveexec_b32 s1, s0
	s_cbranch_execz .LBB0_49
; %bb.48:
	v_dual_add_f32 v23, v23, v29 :: v_dual_add_f32 v24, v24, v26
	v_add_f32_e32 v25, v25, v27
	v_dual_sub_f32 v27, v28, v31 :: v_dual_sub_f32 v20, v21, v20
	s_delay_alu instid0(VALU_DEP_2) | instskip(NEXT) | instid1(VALU_DEP_1)
	v_dual_sub_f32 v21, v30, v22 :: v_dual_add_f32 v22, v25, v23
	v_add_f32_e32 v28, v21, v20
	s_delay_alu instid0(VALU_DEP_2) | instskip(SKIP_2) | instid1(VALU_DEP_3)
	v_add_f32_e32 v22, v24, v22
	v_dual_sub_f32 v26, v25, v23 :: v_dual_sub_f32 v23, v23, v24
	v_dual_sub_f32 v25, v24, v25 :: v_dual_sub_f32 v24, v21, v20
	v_dual_sub_f32 v21, v27, v21 :: v_dual_add_f32 v4, v4, v22
	s_delay_alu instid0(VALU_DEP_3) | instskip(SKIP_1) | instid1(VALU_DEP_4)
	v_mul_f32_e32 v23, 0x3f4a47b2, v23
	v_sub_f32_e32 v20, v20, v27
	v_dual_add_f32 v27, v28, v27 :: v_dual_mul_f32 v28, 0x3d64c772, v25
	s_delay_alu instid0(VALU_DEP_4) | instskip(NEXT) | instid1(VALU_DEP_4)
	v_fmamk_f32 v22, v22, 0xbf955555, v4
	v_fmamk_f32 v25, v25, 0x3d64c772, v23
	s_delay_alu instid0(VALU_DEP_4) | instskip(SKIP_3) | instid1(VALU_DEP_1)
	v_mul_f32_e32 v29, 0x3f5ff5aa, v20
	v_fma_f32 v23, 0xbf3bfb3b, v26, -v23
	v_fma_f32 v28, 0x3f3bfb3b, v26, -v28
	v_mul_f32_e32 v24, 0xbf08b237, v24
	v_fmamk_f32 v26, v21, 0x3eae86e6, v24
	v_fma_f32 v20, 0x3f5ff5aa, v20, -v24
	v_add_f32_e32 v24, v25, v22
	v_fma_f32 v21, 0xbeae86e6, v21, -v29
	v_add_f32_e32 v25, v28, v22
	v_add_f32_e32 v22, v23, v22
	v_fmac_f32_e32 v20, 0x3ee1c552, v27
	s_delay_alu instid0(VALU_DEP_4) | instskip(SKIP_1) | instid1(VALU_DEP_3)
	v_fmac_f32_e32 v21, 0x3ee1c552, v27
	v_fmac_f32_e32 v26, 0x3ee1c552, v27
	v_add_f32_e32 v28, v20, v25
	v_dual_sub_f32 v20, v25, v20 :: v_dual_add_nc_u32 v25, 0x1400, v47
	s_delay_alu instid0(VALU_DEP_4)
	v_sub_f32_e32 v27, v22, v21
	v_add_f32_e32 v21, v21, v22
	v_dual_sub_f32 v23, v24, v26 :: v_dual_add_nc_u32 v22, 0x1800, v47
	v_add_f32_e32 v24, v26, v24
	ds_store_2addr_b32 v25, v4, v23 offset0:64 offset1:112
	ds_store_2addr_b32 v25, v27, v28 offset0:160 offset1:208
	ds_store_2addr_b32 v22, v20, v21 offset1:48
	ds_store_b32 v47, v24 offset:6528
.LBB0_49:
	s_wait_alu 0xfffe
	s_or_b32 exec_lo, exec_lo, s1
	global_wb scope:SCOPE_SE
	s_wait_dscnt 0x0
	s_barrier_signal -1
	s_barrier_wait -1
	global_inv scope:SCOPE_SE
	s_and_saveexec_b32 s0, vcc_lo
	s_cbranch_execz .LBB0_51
; %bb.50:
	v_dual_mov_b32 v41, 0 :: v_dual_lshlrev_b32 v40, 2, v54
	v_mul_hi_u32 v48, 0x18618619, v43
	s_delay_alu instid0(VALU_DEP_2) | instskip(NEXT) | instid1(VALU_DEP_3)
	v_dual_mov_b32 v4, v41 :: v_dual_add_nc_u32 v55, 0xa00, v0
	v_lshlrev_b64_e32 v[20:21], 3, v[40:41]
	s_delay_alu instid0(VALU_DEP_1) | instskip(SKIP_1) | instid1(VALU_DEP_2)
	v_add_co_u32 v24, vcc_lo, s4, v20
	s_wait_alu 0xfffd
	v_add_co_ci_u32_e32 v25, vcc_lo, s5, v21, vcc_lo
	s_clause 0x1
	global_load_b128 v[20:23], v[24:25], off offset:2672
	global_load_b128 v[24:27], v[24:25], off offset:2688
	v_lshlrev_b32_e32 v40, 2, v53
	v_add_nc_u32_e32 v50, 0xc00, v0
	v_add_nc_u32_e32 v52, 0x1000, v0
	;; [unrolled: 1-line block ×3, first 2 shown]
	s_delay_alu instid0(VALU_DEP_4) | instskip(SKIP_2) | instid1(VALU_DEP_3)
	v_lshlrev_b64_e32 v[28:29], 3, v[40:41]
	v_lshlrev_b32_e32 v40, 2, v3
	v_lshlrev_b64_e32 v[3:4], 3, v[3:4]
	v_add_co_u32 v32, vcc_lo, s4, v28
	s_wait_alu 0xfffd
	s_delay_alu instid0(VALU_DEP_4)
	v_add_co_ci_u32_e32 v33, vcc_lo, s5, v29, vcc_lo
	s_clause 0x1
	global_load_b128 v[28:31], v[32:33], off offset:2672
	global_load_b128 v[32:35], v[32:33], off offset:2688
	v_lshlrev_b64_e32 v[36:37], 3, v[40:41]
	v_add_nc_u32_e32 v40, 0x600, v0
	v_add_nc_u32_e32 v56, 0x1400, v0
	s_delay_alu instid0(VALU_DEP_3) | instskip(SKIP_1) | instid1(VALU_DEP_4)
	v_add_co_u32 v44, vcc_lo, s4, v36
	s_wait_alu 0xfffd
	v_add_co_ci_u32_e32 v45, vcc_lo, s5, v37, vcc_lo
	s_clause 0x1
	global_load_b128 v[36:39], v[44:45], off offset:2672
	global_load_b128 v[44:47], v[44:45], off offset:2688
	ds_load_b32 v58, v0 offset:6272
	ds_load_2addr_b32 v[42:43], v0 offset1:112
	v_lshrrev_b32_e32 v0, 1, v48
	ds_load_2addr_b32 v[48:49], v40 offset0:64 offset1:176
	ds_load_2addr_b32 v[50:51], v50 offset0:128 offset1:240
	ds_load_2addr_b32 v[52:53], v52 offset0:96 offset1:208
	v_add_co_u32 v57, vcc_lo, s8, v1
	s_wait_alu 0xfffd
	v_add_co_ci_u32_e32 v59, vcc_lo, s9, v2, vcc_lo
	v_mul_u32_u24_e32 v40, 0x540, v0
	s_delay_alu instid0(VALU_DEP_3) | instskip(SKIP_1) | instid1(VALU_DEP_3)
	v_add_co_u32 v2, vcc_lo, v57, v3
	s_wait_alu 0xfffd
	v_add_co_ci_u32_e32 v3, vcc_lo, v59, v4, vcc_lo
	s_delay_alu instid0(VALU_DEP_3) | instskip(NEXT) | instid1(VALU_DEP_1)
	v_lshlrev_b64_e32 v[40:41], 3, v[40:41]
	v_add_co_u32 v40, vcc_lo, v2, v40
	s_wait_alu 0xfffd
	s_delay_alu instid0(VALU_DEP_2)
	v_add_co_ci_u32_e32 v41, vcc_lo, v3, v41, vcc_lo
	s_wait_loadcnt_dscnt 0x502
	v_mul_f32_e32 v4, v20, v49
	s_wait_loadcnt_dscnt 0x400
	v_dual_mul_f32 v61, v24, v53 :: v_dual_mul_f32 v60, v26, v58
	v_mul_f32_e32 v53, v25, v53
	v_mul_f32_e32 v59, v22, v50
	;; [unrolled: 1-line block ×3, first 2 shown]
	s_delay_alu instid0(VALU_DEP_4) | instskip(SKIP_4) | instid1(VALU_DEP_1)
	v_fmac_f32_e32 v61, v18, v25
	ds_load_2addr_b32 v[0:1], v54 offset0:96 offset1:208
	ds_load_2addr_b32 v[54:55], v55 offset0:32 offset1:144
	v_fma_f32 v18, v18, v24, -v53
	v_fmac_f32_e32 v59, v13, v23
	v_add_f32_e32 v53, v59, v61
	v_sub_f32_e32 v63, v59, v61
	s_wait_loadcnt 0x3
	v_dual_mul_f32 v25, v29, v48 :: v_dual_fmac_f32 v60, v19, v27
	s_wait_loadcnt 0x2
	v_dual_mul_f32 v50, v23, v50 :: v_dual_mul_f32 v23, v33, v52
	v_fmac_f32_e32 v4, v16, v21
	v_mul_f32_e32 v24, v32, v52
	s_delay_alu instid0(VALU_DEP_3) | instskip(SKIP_3) | instid1(VALU_DEP_2)
	v_fma_f32 v21, v13, v22, -v50
	v_fma_f32 v13, v16, v20, -v49
	v_mul_f32_e32 v58, v27, v58
	s_wait_dscnt 0x0
	v_dual_mul_f32 v22, v31, v55 :: v_dual_sub_f32 v67, v21, v13
	s_delay_alu instid0(VALU_DEP_2)
	v_fma_f32 v20, v19, v26, -v58
	v_mul_f32_e32 v19, v30, v55
	ds_load_2addr_b32 v[56:57], v56 offset0:64 offset1:176
	v_mul_f32_e32 v16, v28, v48
	v_sub_f32_e32 v50, v21, v18
	v_add_f32_e32 v58, v21, v18
	v_add_f32_e32 v69, v13, v20
	v_dual_fmac_f32 v19, v12, v31 :: v_dual_sub_f32 v52, v13, v20
	v_sub_f32_e32 v55, v13, v21
	v_fma_f32 v22, v12, v30, -v22
	s_wait_dscnt 0x0
	v_mul_f32_e32 v26, v34, v57
	v_mul_f32_e32 v27, v35, v57
	v_sub_f32_e32 v57, v20, v18
	v_sub_f32_e32 v49, v60, v61
	v_dual_sub_f32 v65, v61, v60 :: v_dual_sub_f32 v48, v4, v59
	v_sub_f32_e32 v64, v59, v4
	v_fmac_f32_e32 v26, v10, v35
	v_fmac_f32_e32 v24, v17, v33
	;; [unrolled: 1-line block ×3, first 2 shown]
	v_sub_f32_e32 v62, v4, v60
	v_add_f32_e32 v66, v4, v60
	v_dual_sub_f32 v68, v18, v20 :: v_dual_add_f32 v31, v48, v49
	v_fma_f32 v29, v17, v32, -v23
	v_fma_f32 v15, v15, v28, -v25
	;; [unrolled: 1-line block ×3, first 2 shown]
	s_wait_loadcnt 0x1
	v_mul_f32_e32 v23, v36, v1
	v_mul_f32_e32 v27, v38, v54
	s_wait_loadcnt 0x0
	v_dual_mul_f32 v32, v46, v56 :: v_dual_mul_f32 v33, v44, v51
	v_dual_mul_f32 v10, v39, v54 :: v_dual_mul_f32 v17, v45, v51
	v_mul_f32_e32 v25, v37, v1
	v_fma_f32 v12, -0.5, v58, v7
	v_add_f32_e32 v35, v64, v65
	v_dual_sub_f32 v51, v26, v24 :: v_dual_add_f32 v70, v7, v13
	v_sub_f32_e32 v49, v16, v19
	v_add_f32_e32 v4, v4, v0
	v_mul_f32_e32 v30, v47, v56
	v_fma_f32 v13, -0.5, v53, v0
	v_add_f32_e32 v34, v55, v57
	v_fma_f32 v1, -0.5, v66, v0
	v_dual_add_f32 v48, v67, v68 :: v_dual_add_f32 v71, v16, v43
	v_fma_f32 v0, -0.5, v69, v7
	v_dual_add_f32 v21, v70, v21 :: v_dual_add_f32 v4, v59, v4
	v_fmac_f32_e32 v23, v8, v37
	v_dual_sub_f32 v53, v22, v29 :: v_dual_sub_f32 v54, v15, v28
	v_dual_fmac_f32 v33, v14, v45 :: v_dual_sub_f32 v56, v15, v22
	v_fmamk_f32 v7, v62, 0xbf737871, v12
	v_sub_f32_e32 v57, v28, v29
	v_dual_add_f32 v58, v22, v29 :: v_dual_sub_f32 v59, v16, v26
	v_add_f32_e32 v55, v19, v24
	v_dual_add_f32 v67, v16, v26 :: v_dual_sub_f32 v68, v22, v15
	v_sub_f32_e32 v69, v29, v28
	v_add_f32_e32 v70, v15, v28
	v_add_f32_e32 v72, v6, v15
	v_dual_fmac_f32 v27, v11, v39 :: v_dual_fmac_f32 v12, 0x3f737871, v62
	v_fmac_f32_e32 v32, v9, v47
	v_fma_f32 v11, v11, v38, -v10
	v_fma_f32 v37, v14, v44, -v17
	;; [unrolled: 1-line block ×4, first 2 shown]
	v_dual_sub_f32 v65, v19, v16 :: v_dual_sub_f32 v66, v24, v26
	v_dual_fmamk_f32 v8, v52, 0x3f737871, v13 :: v_dual_sub_f32 v45, v23, v27
	v_dual_fmamk_f32 v10, v50, 0x3f737871, v1 :: v_dual_sub_f32 v47, v11, v37
	v_fmamk_f32 v9, v63, 0xbf737871, v0
	v_fmac_f32_e32 v13, 0xbf737871, v52
	v_add_f32_e32 v4, v61, v4
	v_add_f32_e32 v18, v21, v18
	v_fmac_f32_e32 v0, 0x3f737871, v63
	v_dual_add_f32 v38, v49, v51 :: v_dual_sub_f32 v61, v27, v33
	v_fma_f32 v15, -0.5, v55, v43
	v_add_f32_e32 v39, v56, v57
	v_fma_f32 v14, -0.5, v58, v6
	v_fma_f32 v17, -0.5, v67, v43
	v_add_f32_e32 v43, v68, v69
	v_fma_f32 v16, -0.5, v70, v6
	v_dual_add_f32 v6, v19, v71 :: v_dual_sub_f32 v69, v37, v36
	v_dual_add_f32 v30, v72, v22 :: v_dual_sub_f32 v55, v25, v11
	v_dual_sub_f32 v46, v32, v33 :: v_dual_add_f32 v67, v23, v32
	v_add_f32_e32 v51, v27, v33
	v_dual_sub_f32 v56, v36, v37 :: v_dual_add_f32 v71, v23, v42
	v_dual_add_f32 v57, v11, v37 :: v_dual_add_f32 v70, v25, v36
	v_dual_fmamk_f32 v21, v54, 0x3f737871, v15 :: v_dual_sub_f32 v64, v19, v24
	v_dual_fmac_f32 v1, 0xbf737871, v50 :: v_dual_add_f32 v72, v5, v25
	v_dual_add_f32 v19, v60, v4 :: v_dual_add_f32 v44, v65, v66
	v_sub_f32_e32 v65, v27, v23
	v_sub_f32_e32 v49, v25, v36
	v_dual_sub_f32 v66, v33, v32 :: v_dual_fmac_f32 v9, 0x3f167918, v62
	v_dual_sub_f32 v68, v11, v25 :: v_dual_fmac_f32 v13, 0xbf167918, v50
	v_dual_fmac_f32 v8, 0x3f167918, v50 :: v_dual_fmac_f32 v1, 0x3f167918, v52
	v_dual_fmac_f32 v10, 0xbf167918, v52 :: v_dual_add_f32 v29, v30, v29
	v_fmac_f32_e32 v0, 0xbf167918, v62
	v_dual_add_f32 v4, v24, v6 :: v_dual_fmac_f32 v9, 0x3e9e377a, v48
	v_fma_f32 v25, -0.5, v51, v42
	v_fma_f32 v24, -0.5, v57, v5
	;; [unrolled: 1-line block ×4, first 2 shown]
	v_add_f32_e32 v51, v27, v71
	v_dual_sub_f32 v58, v23, v32 :: v_dual_fmac_f32 v7, 0xbf167918, v63
	v_fmamk_f32 v22, v64, 0x3f737871, v16
	v_dual_fmac_f32 v16, 0xbf737871, v64 :: v_dual_add_f32 v11, v72, v11
	v_dual_add_f32 v18, v20, v18 :: v_dual_fmamk_f32 v23, v53, 0xbf737871, v17
	v_dual_fmamk_f32 v20, v59, 0xbf737871, v14 :: v_dual_fmac_f32 v15, 0xbf737871, v54
	v_dual_fmac_f32 v14, 0x3f737871, v59 :: v_dual_add_f32 v27, v26, v4
	v_dual_add_f32 v50, v65, v66 :: v_dual_fmac_f32 v13, 0x3e9e377a, v31
	v_dual_fmac_f32 v8, 0x3e9e377a, v31 :: v_dual_add_f32 v11, v11, v37
	v_dual_add_f32 v26, v28, v29 :: v_dual_fmamk_f32 v29, v49, 0x3f737871, v25
	v_dual_fmamk_f32 v31, v47, 0x3f737871, v6 :: v_dual_add_f32 v4, v33, v51
	v_fmamk_f32 v30, v61, 0xbf737871, v5
	v_dual_fmamk_f32 v28, v58, 0xbf737871, v24 :: v_dual_fmac_f32 v25, 0xbf737871, v49
	v_dual_fmac_f32 v24, 0x3f737871, v58 :: v_dual_fmac_f32 v5, 0x3f737871, v61
	v_fmac_f32_e32 v17, 0x3f737871, v53
	v_fmac_f32_e32 v6, 0xbf737871, v47
	v_dual_add_f32 v42, v68, v69 :: v_dual_fmac_f32 v1, 0x3e9e377a, v35
	v_dual_fmac_f32 v21, 0x3f167918, v53 :: v_dual_fmac_f32 v16, 0x3f167918, v59
	v_fmac_f32_e32 v31, 0xbf167918, v49
	v_add_f32_e32 v33, v32, v4
	v_add_f32_e32 v32, v36, v11
	v_dual_fmac_f32 v29, 0x3f167918, v47 :: v_dual_fmac_f32 v30, 0x3f167918, v58
	v_dual_fmac_f32 v12, 0x3f167918, v63 :: v_dual_add_f32 v45, v45, v46
	v_dual_add_f32 v46, v55, v56 :: v_dual_fmac_f32 v7, 0x3e9e377a, v34
	v_dual_fmac_f32 v23, 0x3f167918, v54 :: v_dual_fmac_f32 v14, 0x3f167918, v64
	v_dual_fmac_f32 v28, 0xbf167918, v61 :: v_dual_fmac_f32 v25, 0xbf167918, v47
	v_fmac_f32_e32 v24, 0x3f167918, v61
	v_dual_fmac_f32 v22, 0xbf167918, v59 :: v_dual_fmac_f32 v15, 0xbf167918, v53
	v_dual_fmac_f32 v20, 0xbf167918, v64 :: v_dual_fmac_f32 v17, 0xbf167918, v54
	v_fmac_f32_e32 v6, 0x3f167918, v49
	v_fmac_f32_e32 v5, 0xbf167918, v58
	v_dual_fmac_f32 v16, 0x3e9e377a, v43 :: v_dual_fmac_f32 v31, 0x3e9e377a, v50
	v_fmac_f32_e32 v30, 0x3e9e377a, v42
	v_dual_fmac_f32 v14, 0x3e9e377a, v39 :: v_dual_fmac_f32 v25, 0x3e9e377a, v45
	;; [unrolled: 2-line block ×3, first 2 shown]
	v_dual_fmac_f32 v10, 0x3e9e377a, v35 :: v_dual_fmac_f32 v21, 0x3e9e377a, v38
	v_dual_fmac_f32 v12, 0x3e9e377a, v34 :: v_dual_fmac_f32 v23, 0x3e9e377a, v44
	;; [unrolled: 1-line block ×4, first 2 shown]
	v_fmac_f32_e32 v28, 0x3e9e377a, v46
	v_fmac_f32_e32 v6, 0x3e9e377a, v50
	;; [unrolled: 1-line block ×3, first 2 shown]
	s_clause 0xe
	global_store_b64 v[2:3], v[32:33], off
	global_store_b64 v[2:3], v[30:31], off offset:5376
	global_store_b64 v[2:3], v[26:27], off offset:896
	;; [unrolled: 1-line block ×14, first 2 shown]
.LBB0_51:
	s_nop 0
	s_sendmsg sendmsg(MSG_DEALLOC_VGPRS)
	s_endpgm
	.section	.rodata,"a",@progbits
	.p2align	6, 0x0
	.amdhsa_kernel fft_rtc_fwd_len1680_factors_2_2_2_2_3_7_5_wgs_112_tpt_112_halfLds_sp_ip_CI_unitstride_sbrr_dirReg
		.amdhsa_group_segment_fixed_size 0
		.amdhsa_private_segment_fixed_size 0
		.amdhsa_kernarg_size 88
		.amdhsa_user_sgpr_count 2
		.amdhsa_user_sgpr_dispatch_ptr 0
		.amdhsa_user_sgpr_queue_ptr 0
		.amdhsa_user_sgpr_kernarg_segment_ptr 1
		.amdhsa_user_sgpr_dispatch_id 0
		.amdhsa_user_sgpr_private_segment_size 0
		.amdhsa_wavefront_size32 1
		.amdhsa_uses_dynamic_stack 0
		.amdhsa_enable_private_segment 0
		.amdhsa_system_sgpr_workgroup_id_x 1
		.amdhsa_system_sgpr_workgroup_id_y 0
		.amdhsa_system_sgpr_workgroup_id_z 0
		.amdhsa_system_sgpr_workgroup_info 0
		.amdhsa_system_vgpr_workitem_id 0
		.amdhsa_next_free_vgpr 99
		.amdhsa_next_free_sgpr 32
		.amdhsa_reserve_vcc 1
		.amdhsa_float_round_mode_32 0
		.amdhsa_float_round_mode_16_64 0
		.amdhsa_float_denorm_mode_32 3
		.amdhsa_float_denorm_mode_16_64 3
		.amdhsa_fp16_overflow 0
		.amdhsa_workgroup_processor_mode 1
		.amdhsa_memory_ordered 1
		.amdhsa_forward_progress 0
		.amdhsa_round_robin_scheduling 0
		.amdhsa_exception_fp_ieee_invalid_op 0
		.amdhsa_exception_fp_denorm_src 0
		.amdhsa_exception_fp_ieee_div_zero 0
		.amdhsa_exception_fp_ieee_overflow 0
		.amdhsa_exception_fp_ieee_underflow 0
		.amdhsa_exception_fp_ieee_inexact 0
		.amdhsa_exception_int_div_zero 0
	.end_amdhsa_kernel
	.text
.Lfunc_end0:
	.size	fft_rtc_fwd_len1680_factors_2_2_2_2_3_7_5_wgs_112_tpt_112_halfLds_sp_ip_CI_unitstride_sbrr_dirReg, .Lfunc_end0-fft_rtc_fwd_len1680_factors_2_2_2_2_3_7_5_wgs_112_tpt_112_halfLds_sp_ip_CI_unitstride_sbrr_dirReg
                                        ; -- End function
	.section	.AMDGPU.csdata,"",@progbits
; Kernel info:
; codeLenInByte = 11868
; NumSgprs: 34
; NumVgprs: 99
; ScratchSize: 0
; MemoryBound: 0
; FloatMode: 240
; IeeeMode: 1
; LDSByteSize: 0 bytes/workgroup (compile time only)
; SGPRBlocks: 4
; VGPRBlocks: 12
; NumSGPRsForWavesPerEU: 34
; NumVGPRsForWavesPerEU: 99
; Occupancy: 12
; WaveLimiterHint : 1
; COMPUTE_PGM_RSRC2:SCRATCH_EN: 0
; COMPUTE_PGM_RSRC2:USER_SGPR: 2
; COMPUTE_PGM_RSRC2:TRAP_HANDLER: 0
; COMPUTE_PGM_RSRC2:TGID_X_EN: 1
; COMPUTE_PGM_RSRC2:TGID_Y_EN: 0
; COMPUTE_PGM_RSRC2:TGID_Z_EN: 0
; COMPUTE_PGM_RSRC2:TIDIG_COMP_CNT: 0
	.text
	.p2alignl 7, 3214868480
	.fill 96, 4, 3214868480
	.type	__hip_cuid_e1b3f806e11f59ce,@object ; @__hip_cuid_e1b3f806e11f59ce
	.section	.bss,"aw",@nobits
	.globl	__hip_cuid_e1b3f806e11f59ce
__hip_cuid_e1b3f806e11f59ce:
	.byte	0                               ; 0x0
	.size	__hip_cuid_e1b3f806e11f59ce, 1

	.ident	"AMD clang version 19.0.0git (https://github.com/RadeonOpenCompute/llvm-project roc-6.4.0 25133 c7fe45cf4b819c5991fe208aaa96edf142730f1d)"
	.section	".note.GNU-stack","",@progbits
	.addrsig
	.addrsig_sym __hip_cuid_e1b3f806e11f59ce
	.amdgpu_metadata
---
amdhsa.kernels:
  - .args:
      - .actual_access:  read_only
        .address_space:  global
        .offset:         0
        .size:           8
        .value_kind:     global_buffer
      - .offset:         8
        .size:           8
        .value_kind:     by_value
      - .actual_access:  read_only
        .address_space:  global
        .offset:         16
        .size:           8
        .value_kind:     global_buffer
      - .actual_access:  read_only
        .address_space:  global
        .offset:         24
        .size:           8
        .value_kind:     global_buffer
      - .offset:         32
        .size:           8
        .value_kind:     by_value
      - .actual_access:  read_only
        .address_space:  global
        .offset:         40
        .size:           8
        .value_kind:     global_buffer
      - .actual_access:  read_only
        .address_space:  global
        .offset:         48
        .size:           8
        .value_kind:     global_buffer
      - .offset:         56
        .size:           4
        .value_kind:     by_value
      - .actual_access:  read_only
        .address_space:  global
        .offset:         64
        .size:           8
        .value_kind:     global_buffer
      - .actual_access:  read_only
        .address_space:  global
        .offset:         72
        .size:           8
        .value_kind:     global_buffer
      - .address_space:  global
        .offset:         80
        .size:           8
        .value_kind:     global_buffer
    .group_segment_fixed_size: 0
    .kernarg_segment_align: 8
    .kernarg_segment_size: 88
    .language:       OpenCL C
    .language_version:
      - 2
      - 0
    .max_flat_workgroup_size: 112
    .name:           fft_rtc_fwd_len1680_factors_2_2_2_2_3_7_5_wgs_112_tpt_112_halfLds_sp_ip_CI_unitstride_sbrr_dirReg
    .private_segment_fixed_size: 0
    .sgpr_count:     34
    .sgpr_spill_count: 0
    .symbol:         fft_rtc_fwd_len1680_factors_2_2_2_2_3_7_5_wgs_112_tpt_112_halfLds_sp_ip_CI_unitstride_sbrr_dirReg.kd
    .uniform_work_group_size: 1
    .uses_dynamic_stack: false
    .vgpr_count:     99
    .vgpr_spill_count: 0
    .wavefront_size: 32
    .workgroup_processor_mode: 1
amdhsa.target:   amdgcn-amd-amdhsa--gfx1201
amdhsa.version:
  - 1
  - 2
...

	.end_amdgpu_metadata
